;; amdgpu-corpus repo=ROCm/aiter kind=harvested arch=n/a opt=n/a

/root/src/amdgpu-assembly/repos/ROCm__aiter/hsa/gfx950/f4gemm/f4gemm_bf16_per1x32Fp4_BpreShuffle_96x256.co:	file format elf64-amdgpu

Disassembly of section .text:

0000000000002c00 <_ZN5aiter41f4gemm_bf16_per1x32Fp4_BpreShuffle_96x256E>:
	s_and_b32 s1, s1, 0xffff                                   // 000000002C00: 8601FF01 0000FFFF
	s_load_dwordx2 s[4:5], s[0:1], 0x0                         // 000000002C08: C0060100 00000000
	s_load_dwordx2 s[8:9], s[0:1], 0x10                        // 000000002C10: C0060200 00000010
	s_load_dwordx2 s[12:13], s[0:1], 0x20                      // 000000002C18: C0060300 00000020
	s_load_dwordx2 s[16:17], s[0:1], 0x30                      // 000000002C20: C0060400 00000030
	s_load_dword s41, s[0:1], 0x40                             // 000000002C28: C0020A40 00000040
	s_load_dword s42, s[0:1], 0x50                             // 000000002C30: C0020A80 00000050
	s_load_dword s36, s[0:1], 0x80                             // 000000002C38: C0020900 00000080
	s_load_dword s37, s[0:1], 0xa0                             // 000000002C40: C0020940 000000A0
	s_load_dword s38, s[0:1], 0xc0                             // 000000002C48: C0020980 000000C0
	s_load_dword s43, s[0:1], 0xe0                             // 000000002C50: C0020AC0 000000E0
	s_load_dword s44, s[0:1], 0xf0                             // 000000002C58: C0020B00 000000F0
	s_load_dword s45, s[0:1], 0x100                            // 000000002C60: C0020B40 00000100
	s_load_dwordx2 s[20:21], s[0:1], 0x110                     // 000000002C68: C0060500 00000110
	s_load_dwordx2 s[24:25], s[0:1], 0x120                     // 000000002C70: C0060600 00000120
	s_load_dword s39, s[0:1], 0x130                            // 000000002C78: C00209C0 00000130
	s_load_dword s40, s[0:1], 0x150                            // 000000002C80: C0020A00 00000150
	v_lshrrev_b32_e32 v1, 10, v0                               // 000000002C88: 2002008A
	v_lshrrev_b32_e32 v2, 10, v1                               // 000000002C8C: 2004028A
	v_and_b32_e32 v2, 0x3ff, v2                                // 000000002C90: 260404FF 000003FF
	v_and_b32_e32 v1, 0x3ff, v1                                // 000000002C98: 260202FF 000003FF
	v_and_b32_e32 v0, 0x3ff, v0                                // 000000002CA0: 260000FF 000003FF
	v_lshrrev_b32_e32 v3, 6, v0                                // 000000002CA8: 20060086
	v_and_b32_e32 v0, 63, v0                                   // 000000002CAC: 260000BF
	s_mov_b32 s47, s2                                          // 000000002CB0: BEAF0002
	s_mov_b32 s48, s3                                          // 000000002CB4: BEB00003
	v_readfirstlane_b32 s46, v3                                // 000000002CB8: 7E5C0503
	s_waitcnt lgkmcnt(0)                                       // 000000002CBC: BF8CC07F
	s_add_u32 s51, s44, 0xff                                   // 000000002CC0: 8033FF2C 000000FF
	s_lshr_b32 s50, s51, 8                                     // 000000002CC8: 8F328833
	s_mul_i32 s49, s50, s48                                    // 000000002CCC: 92313032
	s_add_i32 s49, s49, s47                                    // 000000002CD0: 81312F31
	s_add_u32 s51, s43, 0x5f                                   // 000000002CD4: 8033FF2B 0000005F
	s_mov_b32 s63, 0x60                                        // 000000002CDC: BEBF00FF 00000060
	v_cvt_f32_u32_e32 v4, s63                                  // 000000002CE4: 7E080C3F
	s_sub_i32 s62, 0, s63                                      // 000000002CE8: 81BE3F80
	v_rcp_iflag_f32_e32 v4, v4                                 // 000000002CEC: 7E084704
	s_nop 0                                                    // 000000002CF0: BF800000
	v_mul_f32_e32 v4, 0x4f7ffffe, v4                           // 000000002CF4: 0A0808FF 4F7FFFFE
	v_cvt_u32_f32_e32 v4, v4                                   // 000000002CFC: 7E080F04
	v_mul_lo_u32 v5, s62, v4                                   // 000000002D00: D2850005 0002083E
	v_mul_hi_u32 v5, v4, v5                                    // 000000002D08: D2860005 00020B04
	v_add_u32_e32 v4, v4, v5                                   // 000000002D10: 68080B04
	v_mul_hi_u32 v4, s51, v4                                   // 000000002D14: D2860004 00020833
	v_mul_lo_u32 v5, v4, s63                                   // 000000002D1C: D2850005 00007F04
	v_sub_u32_e32 v7, s51, v5                                  // 000000002D24: 6A0E0A33
	v_add_u32_e32 v6, 1, v4                                    // 000000002D28: 680C0881
	v_cmp_le_u32_e32 vcc, s63, v7                              // 000000002D2C: 7D960E3F
	v_subrev_u32_e32 v5, s63, v7                               // 000000002D30: 6C0A0E3F
	s_nop 0                                                    // 000000002D34: BF800000
	v_cndmask_b32_e32 v4, v4, v6, vcc                          // 000000002D38: 00080D04
	v_cndmask_b32_e32 v7, v7, v5, vcc                          // 000000002D3C: 000E0B07
	v_add_u32_e32 v5, 1, v4                                    // 000000002D40: 680A0881
	v_cmp_le_u32_e32 vcc, s63, v7                              // 000000002D44: 7D960E3F
	s_nop 1                                                    // 000000002D48: BF800001
	v_cndmask_b32_e32 v7, v4, v5, vcc                          // 000000002D4C: 000E0B04
	s_nop 3                                                    // 000000002D50: BF800003
	v_readfirstlane_b32 s62, v7                                // 000000002D54: 7E7C0507
	s_nop 3                                                    // 000000002D58: BF800003
	s_lshl_b32 s62, s62, 5                                     // 000000002D5C: 8E3E853E
	s_mov_b32 s47, 0                                           // 000000002D60: BEAF0080

0000000000002d64 <label_0059>:
	s_cmp_lt_i32 s49, s62                                      // 000000002D64: BF043E31
	s_cbranch_scc1 label_005E                                  // 000000002D68: BF850003
	s_sub_i32 s49, s49, s62                                    // 000000002D6C: 81B13E31
	s_add_i32 s47, s47, 32                                     // 000000002D70: 812FA02F
	s_branch label_0059                                        // 000000002D74: BF82FFFB

0000000000002d78 <label_005E>:
	s_sub_i32 s50, s50, s47                                    // 000000002D78: 81B22F32
	s_cmp_lt_i32 s50, 32                                       // 000000002D7C: BF04A032
	s_cbranch_scc1 label_0064                                  // 000000002D80: BF850003
	s_lshr_b32 s48, s49, 5                                     // 000000002D84: 8F308531
	s_and_b32 s62, s49, 31                                     // 000000002D88: 863E9F31
	s_branch label_0084                                        // 000000002D8C: BF820020

0000000000002d90 <label_0064>:
	v_cvt_f32_u32_e32 v4, s50                                  // 000000002D90: 7E080C32
	s_sub_i32 s48, 0, s50                                      // 000000002D94: 81B03280
	v_rcp_iflag_f32_e32 v4, v4                                 // 000000002D98: 7E084704
	s_nop 0                                                    // 000000002D9C: BF800000
	v_mul_f32_e32 v4, 0x4f7ffffe, v4                           // 000000002DA0: 0A0808FF 4F7FFFFE
	v_cvt_u32_f32_e32 v4, v4                                   // 000000002DA8: 7E080F04
	v_mul_lo_u32 v5, s48, v4                                   // 000000002DAC: D2850005 00020830
	v_mul_hi_u32 v5, v4, v5                                    // 000000002DB4: D2860005 00020B04
	v_add_u32_e32 v4, v4, v5                                   // 000000002DBC: 68080B04
	v_mul_hi_u32 v4, s49, v4                                   // 000000002DC0: D2860004 00020831
	v_mul_lo_u32 v5, v4, s50                                   // 000000002DC8: D2850005 00006504
	v_sub_u32_e32 v7, s49, v5                                  // 000000002DD0: 6A0E0A31
	v_add_u32_e32 v6, 1, v4                                    // 000000002DD4: 680C0881
	v_cmp_le_u32_e32 vcc, s50, v7                              // 000000002DD8: 7D960E32
	v_subrev_u32_e32 v5, s50, v7                               // 000000002DDC: 6C0A0E32
	s_nop 0                                                    // 000000002DE0: BF800000
	v_cndmask_b32_e32 v4, v4, v6, vcc                          // 000000002DE4: 00080D04
	v_cndmask_b32_e32 v7, v7, v5, vcc                          // 000000002DE8: 000E0B07
	v_add_u32_e32 v5, 1, v4                                    // 000000002DEC: 680A0881
	v_cmp_le_u32_e32 vcc, s50, v7                              // 000000002DF0: 7D960E32
	s_nop 1                                                    // 000000002DF4: BF800001
	v_cndmask_b32_e32 v7, v4, v5, vcc                          // 000000002DF8: 000E0B04
	s_nop 3                                                    // 000000002DFC: BF800003
	v_readfirstlane_b32 s48, v7                                // 000000002E00: 7E600507
	s_nop 3                                                    // 000000002E04: BF800003
	s_mul_i32 s62, s50, s48                                    // 000000002E08: 923E3032
	s_sub_i32 s62, s49, s62                                    // 000000002E0C: 81BE3E31

0000000000002e10 <label_0084>:
	s_add_i32 s47, s62, s47                                    // 000000002E10: 812F2F3E
	s_lshr_b32 s37, s37, 1                                     // 000000002E14: 8F258125
	s_mul_i32 s62, s48, 0x60                                   // 000000002E18: 923EFF30 00000060
	s_mul_hi_u32 s63, s37, s62                                 // 000000002E20: 963F3E25
	s_add_u32 s13, s13, s63                                    // 000000002E24: 800D3F0D
	s_mul_i32 s63, s37, s62                                    // 000000002E28: 923F3E25
	s_add_u32 s12, s12, s63                                    // 000000002E2C: 800C3F0C
	s_addc_u32 s13, s13, 0                                     // 000000002E30: 820D800D
	s_sub_i32 s63, s43, s62                                    // 000000002E34: 81BF3E2B
	s_cmp_lt_u32 s63, 0x60                                     // 000000002E38: BF0AFF3F 00000060
	s_cselect_b32 s62, s63, 0x60                               // 000000002E40: 853EFF3F 00000060
	s_mul_i32 s14, s37, s62                                    // 000000002E48: 920E3E25
	s_mov_b32 s15, 0x20000                                     // 000000002E4C: BE8F00FF 00020000
	v_lshrrev_b32_e32 v4, 3, v0                                // 000000002E54: 20080083
	v_lshrrev_b32_e32 v5, 2, v4                                // 000000002E58: 200A0882
	v_lshlrev_b32_e32 v5, 4, v5                                // 000000002E5C: 240A0A84
	v_and_b32_e32 v4, 3, v4                                    // 000000002E60: 26080883
	v_lshrrev_b32_e32 v6, 1, v4                                // 000000002E64: 200C0881
	v_lshlrev_b32_e32 v6, 2, v6                                // 000000002E68: 240C0C82
	v_add_u32_e32 v5, v5, v6                                   // 000000002E6C: 680A0D05
	v_and_b32_e32 v4, 1, v4                                    // 000000002E70: 26080881
	v_add_u32_e32 v5, v5, v4                                   // 000000002E74: 680A0905
	v_mul_lo_u32 v178, s37, v5                                 // 000000002E78: D28500B2 00020A25
	v_and_b32_e32 v4, 7, v0                                    // 000000002E80: 26080087
	v_lshlrev_b32_e32 v4, 4, v4                                // 000000002E84: 24080884
	v_add_u32_e32 v178, v4, v178                               // 000000002E88: 69656504
	s_lshr_b32 s62, s46, 1                                     // 000000002E8C: 8F3E812E
	s_mul_i32 s62, s62, 8                                      // 000000002E90: 923E883E
	s_and_b32 s63, s46, 1                                      // 000000002E94: 863F812E
	s_mul_i32 s63, s63, 2                                      // 000000002E98: 923F823F
	s_add_u32 s62, s62, s63                                    // 000000002E9C: 803E3F3E
	s_mul_i32 s62, s37, s62                                    // 000000002EA0: 923E3E25
	v_add_u32_e32 v178, s62, v178                              // 000000002EA4: 6965643E
	s_mul_i32 s62, s37, 32                                     // 000000002EA8: 923EA025
	v_add_u32_e32 v179, s62, v178                              // 000000002EAC: 6967643E
	v_add_u32_e32 v180, s62, v179                              // 000000002EB0: 6969663E
	s_mul_i32 s64, 0x420, s46                                  // 000000002EB4: 92402EFF 00000420
	s_add_u32 s64, 0x1000, s64                                 // 000000002EBC: 804040FF 00001000
	v_and_b32_e32 v4, 15, v0                                   // 000000002EC4: 2608008F
	v_lshrrev_b32_e32 v5, 3, v4                                // 000000002EC8: 200A0883
	v_mul_i32_i24_e32 v5, 2, v5                                // 000000002ECC: 0C0A0A82
	v_and_b32_e32 v4, 3, v0                                    // 000000002ED0: 26080083
	v_lshrrev_b32_e32 v6, 1, v4                                // 000000002ED4: 200C0881
	v_add_u32_e32 v4, v5, v6                                   // 000000002ED8: 68080D05
	v_mul_i32_i24_e32 v181, 0x420, v4                          // 000000002EDC: 0D6A08FF 00000420
	v_and_b32_e32 v4, 7, v0                                    // 000000002EE4: 26080087
	v_lshrrev_b32_e32 v5, 2, v4                                // 000000002EE8: 200A0882
	v_mul_i32_i24_e32 v5, 0x100, v5                            // 000000002EEC: 0C0A0AFF 00000100
	v_add_u32_e32 v181, v5, v181                               // 000000002EF4: 696B6B05
	v_and_b32_e32 v4, 1, v0                                    // 000000002EF8: 26080081
	v_mul_i32_i24_e32 v6, 0x80, v4                             // 000000002EFC: 0C0C08FF 00000080
	v_add_u32_e32 v181, v6, v181                               // 000000002F04: 696B6B06
	v_lshrrev_b32_e32 v4, 4, v0                                // 000000002F08: 20080084
	v_mul_i32_i24_e32 v4, 16, v4                               // 000000002F0C: 0C080890
	v_add_u32_e32 v181, v4, v181                               // 000000002F10: 696B6B04
	v_add_u32_e32 v181, 0x1000, v181                           // 000000002F14: 696B6AFF 00001000
	v_add_u32_e32 v182, 0x3180, v181                           // 000000002F1C: 696D6AFF 00003180
	v_add_u32_e32 v183, 0x3180, v182                           // 000000002F24: 696F6CFF 00003180
	v_add_u32_e32 v184, 0x3180, v183                           // 000000002F2C: 69716EFF 00003180
	s_mul_i32 s62, s48, 0x60                                   // 000000002F34: 923EFF30 00000060
	s_mul_hi_u32 s63, s39, s62                                 // 000000002F3C: 963F3E27
	s_add_u32 s21, s21, s63                                    // 000000002F40: 80153F15
	s_mul_i32 s63, s39, s62                                    // 000000002F44: 923F3E27
	s_add_u32 s20, s20, s63                                    // 000000002F48: 80143F14
	s_addc_u32 s21, s21, 0                                     // 000000002F4C: 82158015
	s_add_u32 s63, s43, 31                                     // 000000002F50: 803F9F2B
	s_lshr_b32 s63, s63, 5                                     // 000000002F54: 8F3F853F
	s_lshl_b32 s63, s63, 5                                     // 000000002F58: 8E3F853F
	s_sub_i32 s63, s63, s62                                    // 000000002F5C: 81BF3E3F
	s_cmp_lt_u32 s63, 0x60                                     // 000000002F60: BF0AFF3F 00000060
	s_cselect_b32 s62, s63, 0x60                               // 000000002F68: 853EFF3F 00000060
	s_mul_i32 s22, s39, s62                                    // 000000002F70: 92163E27
	s_mov_b32 s23, 0x20000                                     // 000000002F74: BE9700FF 00020000
	v_lshlrev_b32_e32 v185, 2, v0                              // 000000002F7C: 25720082
	s_mul_i32 s63, s46, 32                                     // 000000002F80: 923FA02E
	s_mul_i32 s63, s63, s39                                    // 000000002F84: 923F273F
	v_add_u32_e32 v185, s63, v185                              // 000000002F88: 6973723F
	s_mul_i32 s65, s46, 0x100                                  // 000000002F8C: 9241FF2E 00000100
	s_add_i32 s65, s65, 0                                      // 000000002F94: 81418041
	v_lshlrev_b32_e32 v186, 2, v0                              // 000000002F98: 25740082
	v_add_u32_e32 v186, 0, v186                                // 000000002F9C: 69757480
	s_lshr_b32 s38, s38, 1                                     // 000000002FA0: 8F268126
	s_mul_i32 s62, s47, 0x100                                  // 000000002FA4: 923EFF2F 00000100
	s_mul_hi_u32 s63, s38, s62                                 // 000000002FAC: 963F3E26
	s_add_u32 s17, s17, s63                                    // 000000002FB0: 80113F11
	s_mul_i32 s63, s38, s62                                    // 000000002FB4: 923F3E26
	s_add_u32 s16, s16, s63                                    // 000000002FB8: 80103F10
	s_addc_u32 s17, s17, 0                                     // 000000002FBC: 82118011
	s_sub_i32 s63, s44, s62                                    // 000000002FC0: 81BF3E2C
	s_cmp_lt_u32 s63, 0x100                                    // 000000002FC4: BF0AFF3F 00000100
	s_cselect_b32 s62, s63, 0x100                              // 000000002FCC: 853EFF3F 00000100
	s_mul_i32 s18, s38, s62                                    // 000000002FD4: 92123E26
	s_mov_b32 s19, 0x20000                                     // 000000002FD8: BE9300FF 00020000
	v_lshlrev_b32_e32 v187, 4, v0                              // 000000002FE0: 25760084
	s_mul_i32 s63, s46, 64                                     // 000000002FE4: 923FC02E
	s_mul_i32 s62, s63, s38                                    // 000000002FE8: 923E263F
	v_add_u32_e32 v187, s62, v187                              // 000000002FEC: 6977763E
	s_mul_i32 s62, 16, s38                                     // 000000002FF0: 923E2690
	v_add_u32_e32 v188, s62, v187                              // 000000002FF4: 6979763E
	v_add_u32_e32 v189, s62, v188                              // 000000002FF8: 697B783E
	v_add_u32_e32 v190, s62, v189                              // 000000002FFC: 697D7A3E
	s_mul_i32 s62, s47, 0x100                                  // 000000003000: 923EFF2F 00000100
	s_mul_hi_u32 s63, s40, s62                                 // 000000003008: 963F3E28
	s_add_u32 s25, s25, s63                                    // 00000000300C: 80193F19
	s_mul_i32 s63, s40, s62                                    // 000000003010: 923F3E28
	s_add_u32 s24, s24, s63                                    // 000000003014: 80183F18
	s_addc_u32 s25, s25, 0                                     // 000000003018: 82198019
	s_sub_i32 s63, s44, s62                                    // 00000000301C: 81BF3E2C
	s_cmp_lt_u32 s63, 0x100                                    // 000000003020: BF0AFF3F 00000100
	s_cselect_b32 s62, s63, 0x100                              // 000000003028: 853EFF3F 00000100
	s_mul_i32 s26, s40, s62                                    // 000000003030: 921A3E28
	s_mov_b32 s27, 0x20000                                     // 000000003034: BE9B00FF 00020000
	v_lshlrev_b32_e32 v191, 2, v0                              // 00000000303C: 257E0082
	s_mul_i32 s63, s46, 64                                     // 000000003040: 923FC02E
	s_mul_i32 s63, s63, s40                                    // 000000003044: 923F283F
	v_add_u32_e32 v191, s63, v191                              // 000000003048: 697F7E3F
	s_mul_i32 s62, 32, s40                                     // 00000000304C: 923E28A0
	v_add_u32_e32 v192, s62, v191                              // 000000003050: 69817E3E
	s_mov_b32 s66, 0x80                                        // 000000003054: BEC200FF 00000080
	s_mov_b32 s67, 0x800                                       // 00000000305C: BEC300FF 00000800
	s_mov_b32 s68, 0x100                                       // 000000003064: BEC400FF 00000100
	s_mov_b32 s69, 0x100                                       // 00000000306C: BEC500FF 00000100
	s_mov_b32 s60, 0                                           // 000000003074: BEBC0080
	s_mov_b32 s61, s45                                         // 000000003078: BEBD002D
	s_add_u32 m0, 0, s65                                       // 00000000307C: 807C4180
	buffer_load_dword v185, s[20:23], 0 offen lds              // 000000003080: E0511000 800500B9
	v_accvgpr_write_b32 a0, 0                                  // 000000003088: D3D94000 18000080
	v_accvgpr_write_b32 a1, 0                                  // 000000003090: D3D94001 18000080
	v_accvgpr_write_b32 a2, 0                                  // 000000003098: D3D94002 18000080
	v_accvgpr_write_b32 a3, 0                                  // 0000000030A0: D3D94003 18000080
	v_accvgpr_write_b32 a4, 0                                  // 0000000030A8: D3D94004 18000080
	v_accvgpr_write_b32 a5, 0                                  // 0000000030B0: D3D94005 18000080
	s_add_u32 m0, 0, s64                                       // 0000000030B8: 807C4080
	buffer_load_dwordx4 v178, s[12:15], 0 offen lds            // 0000000030BC: E05D1000 800300B2
	v_accvgpr_write_b32 a6, 0                                  // 0000000030C4: D3D94006 18000080
	v_accvgpr_write_b32 a7, 0                                  // 0000000030CC: D3D94007 18000080
	v_accvgpr_write_b32 a8, 0                                  // 0000000030D4: D3D94008 18000080
	v_accvgpr_write_b32 a9, 0                                  // 0000000030DC: D3D94009 18000080
	v_accvgpr_write_b32 a10, 0                                 // 0000000030E4: D3D9400A 18000080
	v_accvgpr_write_b32 a11, 0                                 // 0000000030EC: D3D9400B 18000080
	s_add_u32 m0, 0x1080, s64                                  // 0000000030F4: 807C40FF 00001080
	buffer_load_dwordx4 v179, s[12:15], 0 offen lds            // 0000000030FC: E05D1000 800300B3
	v_accvgpr_write_b32 a12, 0                                 // 000000003104: D3D9400C 18000080
	v_accvgpr_write_b32 a13, 0                                 // 00000000310C: D3D9400D 18000080
	v_accvgpr_write_b32 a14, 0                                 // 000000003114: D3D9400E 18000080
	v_accvgpr_write_b32 a15, 0                                 // 00000000311C: D3D9400F 18000080
	v_accvgpr_write_b32 a16, 0                                 // 000000003124: D3D94010 18000080
	v_accvgpr_write_b32 a17, 0                                 // 00000000312C: D3D94011 18000080
	s_add_u32 m0, 0x2100, s64                                  // 000000003134: 807C40FF 00002100
	buffer_load_dwordx4 v180, s[12:15], 0 offen lds            // 00000000313C: E05D1000 800300B4
	v_accvgpr_write_b32 a18, 0                                 // 000000003144: D3D94012 18000080
	v_accvgpr_write_b32 a19, 0                                 // 00000000314C: D3D94013 18000080
	v_accvgpr_write_b32 a20, 0                                 // 000000003154: D3D94014 18000080
	v_accvgpr_write_b32 a21, 0                                 // 00000000315C: D3D94015 18000080
	v_accvgpr_write_b32 a22, 0                                 // 000000003164: D3D94016 18000080
	v_accvgpr_write_b32 a23, 0                                 // 00000000316C: D3D94017 18000080
	buffer_load_dwordx4 v[104:107], v187, s[16:19], 0 offen    // 000000003174: E05C1000 800468BB
	v_accvgpr_write_b32 a24, 0                                 // 00000000317C: D3D94018 18000080
	v_accvgpr_write_b32 a25, 0                                 // 000000003184: D3D94019 18000080
	v_accvgpr_write_b32 a26, 0                                 // 00000000318C: D3D9401A 18000080
	v_accvgpr_write_b32 a27, 0                                 // 000000003194: D3D9401B 18000080
	v_accvgpr_write_b32 a28, 0                                 // 00000000319C: D3D9401C 18000080
	v_accvgpr_write_b32 a29, 0                                 // 0000000031A4: D3D9401D 18000080
	buffer_load_dwordx4 v[108:111], v188, s[16:19], 0 offen    // 0000000031AC: E05C1000 80046CBC
	v_accvgpr_write_b32 a30, 0                                 // 0000000031B4: D3D9401E 18000080
	v_accvgpr_write_b32 a31, 0                                 // 0000000031BC: D3D9401F 18000080
	v_accvgpr_write_b32 a32, 0                                 // 0000000031C4: D3D94020 18000080
	v_accvgpr_write_b32 a33, 0                                 // 0000000031CC: D3D94021 18000080
	v_accvgpr_write_b32 a34, 0                                 // 0000000031D4: D3D94022 18000080
	v_accvgpr_write_b32 a35, 0                                 // 0000000031DC: D3D94023 18000080
	buffer_load_dwordx4 v[112:115], v187, s[16:19], 0 offen offset:1024// 0000000031E4: E05C1400 800470BB
	v_accvgpr_write_b32 a36, 0                                 // 0000000031EC: D3D94024 18000080
	v_accvgpr_write_b32 a37, 0                                 // 0000000031F4: D3D94025 18000080
	v_accvgpr_write_b32 a38, 0                                 // 0000000031FC: D3D94026 18000080
	v_accvgpr_write_b32 a39, 0                                 // 000000003204: D3D94027 18000080
	v_accvgpr_write_b32 a40, 0                                 // 00000000320C: D3D94028 18000080
	v_accvgpr_write_b32 a41, 0                                 // 000000003214: D3D94029 18000080
	buffer_load_dwordx4 v[116:119], v188, s[16:19], 0 offen offset:1024// 00000000321C: E05C1400 800474BC
	v_accvgpr_write_b32 a42, 0                                 // 000000003224: D3D9402A 18000080
	v_accvgpr_write_b32 a43, 0                                 // 00000000322C: D3D9402B 18000080
	v_accvgpr_write_b32 a44, 0                                 // 000000003234: D3D9402C 18000080
	v_accvgpr_write_b32 a45, 0                                 // 00000000323C: D3D9402D 18000080
	v_accvgpr_write_b32 a46, 0                                 // 000000003244: D3D9402E 18000080
	v_accvgpr_write_b32 a47, 0                                 // 00000000324C: D3D9402F 18000080
	buffer_load_dword v174, v191, s[24:27], 0 offen            // 000000003254: E0501000 8006AEBF
	v_accvgpr_write_b32 a48, 0                                 // 00000000325C: D3D94030 18000080
	v_accvgpr_write_b32 a49, 0                                 // 000000003264: D3D94031 18000080
	v_accvgpr_write_b32 a50, 0                                 // 00000000326C: D3D94032 18000080
	v_accvgpr_write_b32 a51, 0                                 // 000000003274: D3D94033 18000080
	v_accvgpr_write_b32 a52, 0                                 // 00000000327C: D3D94034 18000080
	v_accvgpr_write_b32 a53, 0                                 // 000000003284: D3D94035 18000080
	s_add_u32 s62, 0x100, s60                                  // 00000000328C: 803E3CFF 00000100
	s_cmp_lt_u32 s62, s61                                      // 000000003294: BF0A3D3E
	s_cselect_b32 s66, s66, 0                                  // 000000003298: 85428042
	s_cselect_b32 s68, s68, 0                                  // 00000000329C: 85448044
	s_add_u32 s12, s12, s66                                    // 0000000032A0: 800C420C
	s_addc_u32 s13, 0, s13                                     // 0000000032A4: 820D0D80
	s_sub_u32 s14, s14, s66                                    // 0000000032A8: 808E420E
	s_add_u32 s20, s20, s68                                    // 0000000032AC: 80144414
	s_addc_u32 s21, 0, s21                                     // 0000000032B0: 82151580
	s_sub_u32 s22, s22, s68                                    // 0000000032B4: 80964416
	buffer_load_dwordx4 v[120:123], v189, s[16:19], 0 offen    // 0000000032B8: E05C1000 800478BD
	v_accvgpr_write_b32 a54, 0                                 // 0000000032C0: D3D94036 18000080
	v_accvgpr_write_b32 a55, 0                                 // 0000000032C8: D3D94037 18000080
	v_accvgpr_write_b32 a56, 0                                 // 0000000032D0: D3D94038 18000080
	v_accvgpr_write_b32 a57, 0                                 // 0000000032D8: D3D94039 18000080
	v_accvgpr_write_b32 a58, 0                                 // 0000000032E0: D3D9403A 18000080
	v_accvgpr_write_b32 a59, 0                                 // 0000000032E8: D3D9403B 18000080
	buffer_load_dwordx4 v[124:127], v190, s[16:19], 0 offen    // 0000000032F0: E05C1000 80047CBE
	v_accvgpr_write_b32 a60, 0                                 // 0000000032F8: D3D9403C 18000080
	v_accvgpr_write_b32 a61, 0                                 // 000000003300: D3D9403D 18000080
	v_accvgpr_write_b32 a62, 0                                 // 000000003308: D3D9403E 18000080
	v_accvgpr_write_b32 a63, 0                                 // 000000003310: D3D9403F 18000080
	v_accvgpr_write_b32 a64, 0                                 // 000000003318: D3D94040 18000080
	v_accvgpr_write_b32 a65, 0                                 // 000000003320: D3D94041 18000080
	buffer_load_dwordx4 v[128:131], v189, s[16:19], 0 offen offset:1024// 000000003328: E05C1400 800480BD
	v_accvgpr_write_b32 a66, 0                                 // 000000003330: D3D94042 18000080
	v_accvgpr_write_b32 a67, 0                                 // 000000003338: D3D94043 18000080
	v_accvgpr_write_b32 a68, 0                                 // 000000003340: D3D94044 18000080
	v_accvgpr_write_b32 a69, 0                                 // 000000003348: D3D94045 18000080
	v_accvgpr_write_b32 a70, 0                                 // 000000003350: D3D94046 18000080
	v_accvgpr_write_b32 a71, 0                                 // 000000003358: D3D94047 18000080
	buffer_load_dwordx4 v[132:135], v190, s[16:19], 0 offen offset:1024// 000000003360: E05C1400 800484BE
	v_accvgpr_write_b32 a72, 0                                 // 000000003368: D3D94048 18000080
	v_accvgpr_write_b32 a73, 0                                 // 000000003370: D3D94049 18000080
	v_accvgpr_write_b32 a74, 0                                 // 000000003378: D3D9404A 18000080
	v_accvgpr_write_b32 a75, 0                                 // 000000003380: D3D9404B 18000080
	v_accvgpr_write_b32 a76, 0                                 // 000000003388: D3D9404C 18000080
	v_accvgpr_write_b32 a77, 0                                 // 000000003390: D3D9404D 18000080
	buffer_load_dword v175, v192, s[24:27], 0 offen            // 000000003398: E0501000 8006AFC0
	v_accvgpr_write_b32 a78, 0                                 // 0000000033A0: D3D9404E 18000080
	v_accvgpr_write_b32 a79, 0                                 // 0000000033A8: D3D9404F 18000080
	v_accvgpr_write_b32 a80, 0                                 // 0000000033B0: D3D94050 18000080
	v_accvgpr_write_b32 a81, 0                                 // 0000000033B8: D3D94051 18000080
	v_accvgpr_write_b32 a82, 0                                 // 0000000033C0: D3D94052 18000080
	v_accvgpr_write_b32 a83, 0                                 // 0000000033C8: D3D94053 18000080
	s_add_u32 s63, 0x100, s60                                  // 0000000033D0: 803F3CFF 00000100
	s_cmp_lt_u32 s63, s61                                      // 0000000033D8: BF0A3D3F
	s_cselect_b32 s67, s67, 0                                  // 0000000033DC: 85438043
	s_cselect_b32 s69, s69, 0                                  // 0000000033E0: 85458045
	s_add_u32 s16, s16, s67                                    // 0000000033E4: 80104310
	s_addc_u32 s17, 0, s17                                     // 0000000033E8: 82111180
	s_sub_u32 s18, s18, s67                                    // 0000000033EC: 80924312
	s_add_u32 s24, s24, s69                                    // 0000000033F0: 80184518
	s_addc_u32 s25, 0, s25                                     // 0000000033F4: 82191980
	s_sub_u32 s26, s26, s69                                    // 0000000033F8: 809A451A
	s_add_u32 m0, 0x400, s65                                   // 0000000033FC: 807C41FF 00000400
	buffer_load_dword v185, s[20:23], 0 offen lds              // 000000003404: E0511000 800500B9
	v_accvgpr_write_b32 a84, 0                                 // 00000000340C: D3D94054 18000080
	v_accvgpr_write_b32 a85, 0                                 // 000000003414: D3D94055 18000080
	v_accvgpr_write_b32 a86, 0                                 // 00000000341C: D3D94056 18000080
	v_accvgpr_write_b32 a87, 0                                 // 000000003424: D3D94057 18000080
	v_accvgpr_write_b32 a88, 0                                 // 00000000342C: D3D94058 18000080
	v_accvgpr_write_b32 a89, 0                                 // 000000003434: D3D94059 18000080
	s_add_u32 m0, 0x3180, s64                                  // 00000000343C: 807C40FF 00003180
	buffer_load_dwordx4 v178, s[12:15], 0 offen lds            // 000000003444: E05D1000 800300B2
	v_accvgpr_write_b32 a90, 0                                 // 00000000344C: D3D9405A 18000080
	v_accvgpr_write_b32 a91, 0                                 // 000000003454: D3D9405B 18000080
	v_accvgpr_write_b32 a92, 0                                 // 00000000345C: D3D9405C 18000080
	v_accvgpr_write_b32 a93, 0                                 // 000000003464: D3D9405D 18000080
	v_accvgpr_write_b32 a94, 0                                 // 00000000346C: D3D9405E 18000080
	v_accvgpr_write_b32 a95, 0                                 // 000000003474: D3D9405F 18000080
	s_add_u32 m0, 0x4200, s64                                  // 00000000347C: 807C40FF 00004200
	buffer_load_dwordx4 v179, s[12:15], 0 offen lds            // 000000003484: E05D1000 800300B3
	s_add_u32 m0, 0x5280, s64                                  // 00000000348C: 807C40FF 00005280
	buffer_load_dwordx4 v180, s[12:15], 0 offen lds            // 000000003494: E05D1000 800300B4
	buffer_load_dwordx4 v[136:139], v187, s[16:19], 0 offen    // 00000000349C: E05C1000 800488BB
	buffer_load_dwordx4 v[140:143], v188, s[16:19], 0 offen    // 0000000034A4: E05C1000 80048CBC
	buffer_load_dwordx4 v[144:147], v187, s[16:19], 0 offen offset:1024// 0000000034AC: E05C1400 800490BB
	buffer_load_dwordx4 v[148:151], v188, s[16:19], 0 offen offset:1024// 0000000034B4: E05C1400 800494BC
	buffer_load_dword v176, v191, s[24:27], 0 offen            // 0000000034BC: E0501000 8006B0BF
	s_add_u32 s62, 0x200, s60                                  // 0000000034C4: 803E3CFF 00000200
	s_cmp_lt_u32 s62, s61                                      // 0000000034CC: BF0A3D3E
	s_cselect_b32 s66, s66, 0                                  // 0000000034D0: 85428042
	s_cselect_b32 s68, s68, 0                                  // 0000000034D4: 85448044
	s_add_u32 s12, s12, s66                                    // 0000000034D8: 800C420C
	s_addc_u32 s13, 0, s13                                     // 0000000034DC: 820D0D80
	s_sub_u32 s14, s14, s66                                    // 0000000034E0: 808E420E
	s_add_u32 s20, s20, s68                                    // 0000000034E4: 80144414
	s_addc_u32 s21, 0, s21                                     // 0000000034E8: 82151580
	s_sub_u32 s22, s22, s68                                    // 0000000034EC: 80964416
	s_waitcnt vmcnt(20)                                        // 0000000034F0: BF8C4F74
	s_barrier                                                  // 0000000034F4: BF8A0000
	ds_read_b128 v[8:11], v181                                 // 0000000034F8: D9FE0000 080000B5
	ds_read_b128 v[16:19], v181 offset:64                      // 000000003500: D9FE0040 100000B5
	ds_read_b128 v[12:15], v181 offset:512                     // 000000003508: D9FE0200 0C0000B5
	ds_read_b128 v[20:23], v181 offset:576                     // 000000003510: D9FE0240 140000B5
	ds_read_b32 v168, v186                                     // 000000003518: D86C0000 A80000BA
	ds_read_b128 v[24:27], v181 offset:4224                    // 000000003520: D9FE1080 180000B5
	ds_read_b128 v[32:35], v181 offset:4288                    // 000000003528: D9FE10C0 200000B5
	ds_read_b128 v[28:31], v181 offset:4736                    // 000000003530: D9FE1280 1C0000B5
	ds_read_b128 v[36:39], v181 offset:4800                    // 000000003538: D9FE12C0 240000B5
	ds_read_b32 v169, v186 offset:256                          // 000000003540: D86C0100 A90000BA
	s_nop 0                                                    // 000000003548: BF800000
	s_nop 0                                                    // 00000000354C: BF800000
	s_nop 0                                                    // 000000003550: BF800000
	s_nop 0                                                    // 000000003554: BF800000
	;; [unrolled: 1-line block ×3, first 2 shown]
	s_lshl_b32 s36, s36, 1                                     // 00000000355C: 8E248124
	s_mul_i32 s62, s48, 0x60                                   // 000000003560: 923EFF30 00000060
	s_mul_hi_u32 s63, s36, s62                                 // 000000003568: 963F3E24
	s_add_u32 s5, s5, s63                                      // 00000000356C: 80053F05
	s_mul_i32 s63, s36, s62                                    // 000000003570: 923F3E24
	s_add_u32 s4, s4, s63                                      // 000000003574: 80043F04
	s_addc_u32 s5, s5, 0                                       // 000000003578: 82058005
	s_mul_i32 s63, s47, 0x100                                  // 00000000357C: 923FFF2F 00000100
	s_lshl_b32 s63, s63, 1                                     // 000000003584: 8E3F813F
	s_add_u32 s4, s4, s63                                      // 000000003588: 80043F04
	s_addc_u32 s5, s5, 0                                       // 00000000358C: 82058005
	s_sub_i32 s62, s43, s62                                    // 000000003590: 81BE3E2B
	s_cmp_lt_u32 s62, 0x60                                     // 000000003594: BF0AFF3E 00000060
	s_cselect_b32 s62, s62, 0x60                               // 00000000359C: 853EFF3E 00000060
	s_mul_i32 s62, s36, s62                                    // 0000000035A4: 923E3E24
	s_sub_i32 s6, s62, s63                                     // 0000000035A8: 81863F3E
	s_mov_b32 s7, 0x20000                                      // 0000000035AC: BE8700FF 00020000
	s_mul_i32 s62, s46, 64                                     // 0000000035B4: 923EC02E
	s_lshl_b32 s62, s62, 1                                     // 0000000035B8: 8E3E813E
	v_lshrrev_b32_e32 v4, 5, v0                                // 0000000035BC: 20080085
	v_mul_i32_i24_e32 v4, 16, v4                               // 0000000035C0: 0C080890
	v_lshrrev_b32_e32 v5, 4, v0                                // 0000000035C4: 200A0084
	v_and_b32_e32 v5, 1, v5                                    // 0000000035C8: 260A0A81
	v_mul_i32_i24_e32 v5, 32, v5                               // 0000000035CC: 0C0A0AA0
	v_add_u32_e32 v4, v4, v5                                   // 0000000035D0: 68080B04
	v_and_b32_e32 v5, 15, v0                                   // 0000000035D4: 260A008F
	v_mul_lo_u32 v193, s36, v5                                 // 0000000035D8: D28500C1 00020A24
	v_add_u32_e32 v193, s62, v193                              // 0000000035E0: 6983823E
	v_add_u32_e32 v193, v4, v193                               // 0000000035E4: 69838304
	s_cmp_lt_i32 s46, 2                                        // 0000000035E8: BF04822E
	s_cbranch_scc0 label_0703                                  // 0000000035EC: BF840487

00000000000035f0 <label_027C>:
	s_waitcnt vmcnt(14) lgkmcnt(5)                             // 0000000035F0: BF8C057E
	s_barrier                                                  // 0000000035F4: BF8A0000
	v_mfma_scale_f32_16x16x128_f8f6f4 a[0:3], v[104:107], v[8:11], a[0:3], v174, v168 op_sel_hi:[0,0,0] cbsz:4 blgp:4// 0000000035F8: D3AC6000 000351AE D3AD8C00 84021168
	s_add_u32 s63, 0x200, s60                                  // 000000003608: 803F3CFF 00000200
	ds_read_b128 v[40:43], v181 offset:8448                    // 000000003610: D9FE2100 280000B5
	v_mfma_scale_f32_16x16x128_f8f6f4 a[4:7], v[104:107], v[12:15], a[4:7], v174, v168 op_sel_hi:[0,0,0] cbsz:4 blgp:4// 000000003618: D3AC7000 000351AE D3AD8C04 84121968
	s_cmp_lt_u32 s63, s61                                      // 000000003628: BF0A3D3F
	buffer_load_dwordx4 v[152:155], v189, s[16:19], 0 offen    // 00000000362C: E05C1000 800498BD
	v_mfma_scale_f32_16x16x128_f8f6f4 a[8:11], v[108:111], v[8:11], a[8:11], v174, v168 op_sel_hi:[0,0,0] cbsz:4 blgp:4// 000000003634: D3AC6800 000351AE D3AD8C08 8422116C
	s_cselect_b32 s67, s67, 0                                  // 000000003644: 85438043
	ds_read_b128 v[48:51], v181 offset:8512                    // 000000003648: D9FE2140 300000B5
	v_mfma_scale_f32_16x16x128_f8f6f4 a[12:15], v[108:111], v[12:15], a[12:15], v174, v168 op_sel_hi:[0,0,0] cbsz:4 blgp:4// 000000003650: D3AC7800 000351AE D3AD8C0C 8432196C
	s_cselect_b32 s69, s69, 0                                  // 000000003660: 85458045
	buffer_load_dwordx4 v[156:159], v190, s[16:19], 0 offen    // 000000003664: E05C1000 80049CBE
	v_mfma_scale_f32_16x16x128_f8f6f4 a[0:3], v[112:115], v[16:19], a[0:3], v174, v168 op_sel_hi:[0,0,0] cbsz:4 blgp:4// 00000000366C: D3AC6000 180351AE D3AD8C00 84022170
	ds_read_b128 v[44:47], v181 offset:8960                    // 00000000367C: D9FE2300 2C0000B5
	v_mfma_scale_f32_16x16x128_f8f6f4 a[4:7], v[112:115], v[20:23], a[4:7], v174, v168 op_sel_hi:[0,0,0] cbsz:4 blgp:4// 000000003684: D3AC7000 180351AE D3AD8C04 84122970
	buffer_load_dwordx4 v[160:163], v189, s[16:19], 0 offen offset:1024// 000000003694: E05C1400 8004A0BD
	v_mfma_scale_f32_16x16x128_f8f6f4 a[8:11], v[116:119], v[16:19], a[8:11], v174, v168 op_sel_hi:[0,0,0] cbsz:4 blgp:4// 00000000369C: D3AC6800 180351AE D3AD8C08 84222174
	ds_read_b128 v[52:55], v181 offset:9024                    // 0000000036AC: D9FE2340 340000B5
	v_mfma_scale_f32_16x16x128_f8f6f4 a[12:15], v[116:119], v[20:23], a[12:15], v174, v168 op_sel_hi:[0,0,0] cbsz:4 blgp:4// 0000000036B4: D3AC7800 180351AE D3AD8C0C 84322974
	buffer_load_dwordx4 v[164:167], v190, s[16:19], 0 offen offset:1024// 0000000036C4: E05C1400 8004A4BE
	ds_read_b32 v170, v186 offset:512                          // 0000000036CC: D86C0200 AA0000BA
	s_waitcnt lgkmcnt(5)                                       // 0000000036D4: BF8CC57F
	v_mfma_scale_f32_16x16x128_f8f6f4 a[32:35], v[104:107], v[24:27], a[32:35], v174, v169 op_sel_hi:[0,0,0] cbsz:4 blgp:4// 0000000036D8: D3AC6000 000353AE D3AD8C20 84823168
	v_mfma_scale_f32_16x16x128_f8f6f4 a[36:39], v[104:107], v[28:31], a[36:39], v174, v169 op_sel_hi:[0,0,0] cbsz:4 blgp:4// 0000000036E8: D3AC7000 000353AE D3AD8C24 84923968
	buffer_load_dword v177, v192, s[24:27], 0 offen            // 0000000036F8: E0501000 8006B1C0
	v_mfma_scale_f32_16x16x128_f8f6f4 a[40:43], v[108:111], v[24:27], a[40:43], v174, v169 op_sel_hi:[0,0,0] cbsz:4 blgp:4// 000000003700: D3AC6800 000353AE D3AD8C28 84A2316C
	s_add_u32 s16, s16, s67                                    // 000000003710: 80104310
	s_addc_u32 s17, 0, s17                                     // 000000003714: 82111180
	v_mfma_scale_f32_16x16x128_f8f6f4 a[44:47], v[108:111], v[28:31], a[44:47], v174, v169 op_sel_hi:[0,0,0] cbsz:4 blgp:4// 000000003718: D3AC7800 000353AE D3AD8C2C 84B2396C
	s_sub_u32 s18, s18, s67                                    // 000000003728: 80924312
	s_add_u32 s24, s24, s69                                    // 00000000372C: 80184518
	v_mfma_scale_f32_16x16x128_f8f6f4 a[32:35], v[112:115], v[32:35], a[32:35], v174, v169 op_sel_hi:[0,0,0] cbsz:4 blgp:4// 000000003730: D3AC6000 180353AE D3AD8C20 84824170
	s_addc_u32 s25, 0, s25                                     // 000000003740: 82191980
	s_sub_u32 s26, s26, s69                                    // 000000003744: 809A451A
	v_mfma_scale_f32_16x16x128_f8f6f4 a[36:39], v[112:115], v[36:39], a[36:39], v174, v169 op_sel_hi:[0,0,0] cbsz:4 blgp:4// 000000003748: D3AC7000 180353AE D3AD8C24 84924970
	s_add_u32 m0, 0x800, s65                                   // 000000003758: 807C41FF 00000800
	buffer_load_dword v185, s[20:23], 0 offen lds              // 000000003760: E0511000 800500B9
	v_mfma_scale_f32_16x16x128_f8f6f4 a[40:43], v[116:119], v[32:35], a[40:43], v174, v169 op_sel_hi:[0,0,0] cbsz:4 blgp:4// 000000003768: D3AC6800 180353AE D3AD8C28 84A24174
	v_mfma_scale_f32_16x16x128_f8f6f4 a[44:47], v[116:119], v[36:39], a[44:47], v174, v169 op_sel_hi:[0,0,0] cbsz:4 blgp:4// 000000003778: D3AC7800 180353AE D3AD8C2C 84B24974
	s_add_u32 m0, 0x6300, s64                                  // 000000003788: 807C40FF 00006300
	buffer_load_dwordx4 v178, s[12:15], 0 offen lds            // 000000003790: E05D1000 800300B2
	s_waitcnt lgkmcnt(0)                                       // 000000003798: BF8CC07F
	v_mfma_scale_f32_16x16x128_f8f6f4 a[64:67], v[104:107], v[40:43], a[64:67], v174, v170 op_sel_hi:[0,0,0] cbsz:4 blgp:4// 00000000379C: D3AC6000 000355AE D3AD8C40 85025168
	v_mfma_scale_f32_16x16x128_f8f6f4 a[68:71], v[104:107], v[44:47], a[68:71], v174, v170 op_sel_hi:[0,0,0] cbsz:4 blgp:4// 0000000037AC: D3AC7000 000355AE D3AD8C44 85125968
	v_mfma_scale_f32_16x16x128_f8f6f4 a[72:75], v[108:111], v[40:43], a[72:75], v174, v170 op_sel_hi:[0,0,0] cbsz:4 blgp:4// 0000000037BC: D3AC6800 000355AE D3AD8C48 8522516C
	v_mfma_scale_f32_16x16x128_f8f6f4 a[76:79], v[108:111], v[44:47], a[76:79], v174, v170 op_sel_hi:[0,0,0] cbsz:4 blgp:4// 0000000037CC: D3AC7800 000355AE D3AD8C4C 8532596C
	v_mfma_scale_f32_16x16x128_f8f6f4 a[64:67], v[112:115], v[48:51], a[64:67], v174, v170 op_sel_hi:[0,0,0] cbsz:4 blgp:4// 0000000037DC: D3AC6000 180355AE D3AD8C40 85026170
	v_mfma_scale_f32_16x16x128_f8f6f4 a[68:71], v[112:115], v[52:55], a[68:71], v174, v170 op_sel_hi:[0,0,0] cbsz:4 blgp:4// 0000000037EC: D3AC7000 180355AE D3AD8C44 85126970
	v_mfma_scale_f32_16x16x128_f8f6f4 a[72:75], v[116:119], v[48:51], a[72:75], v174, v170 op_sel_hi:[0,0,0] cbsz:4 blgp:4// 0000000037FC: D3AC6800 180355AE D3AD8C48 85226174
	v_mfma_scale_f32_16x16x128_f8f6f4 a[76:79], v[116:119], v[52:55], a[76:79], v174, v170 op_sel_hi:[0,0,0] cbsz:4 blgp:4// 00000000380C: D3AC7800 180355AE D3AD8C4C 85326974
	s_waitcnt vmcnt(16)                                        // 00000000381C: BF8C4F70
	v_mfma_scale_f32_16x16x128_f8f6f4 a[16:19], v[120:123], v[8:11], a[16:19], v175, v168 op_sel_hi:[0,0,0] cbsz:4 blgp:4// 000000003820: D3AC6000 000351AF D3AD8C10 84421178
	v_mfma_scale_f32_16x16x128_f8f6f4 a[20:23], v[120:123], v[12:15], a[20:23], v175, v168 op_sel_hi:[0,0,0] cbsz:4 blgp:4// 000000003830: D3AC7000 000351AF D3AD8C14 84521978
	s_add_u32 m0, 0x7380, s64                                  // 000000003840: 807C40FF 00007380
	buffer_load_dwordx4 v179, s[12:15], 0 offen lds            // 000000003848: E05D1000 800300B3
	v_mfma_scale_f32_16x16x128_f8f6f4 a[24:27], v[124:127], v[8:11], a[24:27], v175, v168 op_sel_hi:[0,0,0] cbsz:4 blgp:4// 000000003850: D3AC6800 000351AF D3AD8C18 8462117C
	v_mfma_scale_f32_16x16x128_f8f6f4 a[28:31], v[124:127], v[12:15], a[28:31], v175, v168 op_sel_hi:[0,0,0] cbsz:4 blgp:4// 000000003860: D3AC7800 000351AF D3AD8C1C 8472197C
	s_add_u32 m0, 0x8400, s64                                  // 000000003870: 807C40FF 00008400
	buffer_load_dwordx4 v180, s[12:15], 0 offen lds            // 000000003878: E05D1000 800300B4
	v_mfma_scale_f32_16x16x128_f8f6f4 a[16:19], v[128:131], v[16:19], a[16:19], v175, v168 op_sel_hi:[0,0,0] cbsz:4 blgp:4// 000000003880: D3AC6000 180351AF D3AD8C10 84422180
	s_add_u32 s62, 0x300, s60                                  // 000000003890: 803E3CFF 00000300
	s_cmp_lt_u32 s62, s61                                      // 000000003898: BF0A3D3E
	v_mfma_scale_f32_16x16x128_f8f6f4 a[20:23], v[128:131], v[20:23], a[20:23], v175, v168 op_sel_hi:[0,0,0] cbsz:4 blgp:4// 00000000389C: D3AC7000 180351AF D3AD8C14 84522980
	s_cselect_b32 s66, s66, 0                                  // 0000000038AC: 85428042
	buffer_load_dwordx4 v[104:107], v187, s[16:19], 0 offen    // 0000000038B0: E05C1000 800468BB
	v_mfma_scale_f32_16x16x128_f8f6f4 a[24:27], v[132:135], v[16:19], a[24:27], v175, v168 op_sel_hi:[0,0,0] cbsz:4 blgp:4// 0000000038B8: D3AC6800 180351AF D3AD8C18 84622184
	s_cselect_b32 s68, s68, 0                                  // 0000000038C8: 85448044
	s_add_u32 s12, s12, s66                                    // 0000000038CC: 800C420C
	v_mfma_scale_f32_16x16x128_f8f6f4 a[28:31], v[132:135], v[20:23], a[28:31], v175, v168 op_sel_hi:[0,0,0] cbsz:4 blgp:4// 0000000038D0: D3AC5800 180351AF D3AD8C1C 84722984
	s_addc_u32 s13, 0, s13                                     // 0000000038E0: 820D0D80
	buffer_load_dwordx4 v[108:111], v188, s[16:19], 0 offen    // 0000000038E4: E05C1000 80046CBC
	s_waitcnt vmcnt(17)                                        // 0000000038EC: BF8C4F71
	s_barrier                                                  // 0000000038F0: BF8A0000
	v_mfma_scale_f32_16x16x128_f8f6f4 a[48:51], v[120:123], v[24:27], a[48:51], v175, v169 op_sel_hi:[0,0,0] cbsz:4 blgp:4// 0000000038F4: D3AC6000 000353AF D3AD8C30 84C23178
	s_sub_u32 s14, s14, s66                                    // 000000003904: 808E420E
	ds_read_b128 v[56:59], v182                                // 000000003908: D9FE0000 380000B6
	v_mfma_scale_f32_16x16x128_f8f6f4 a[52:55], v[120:123], v[28:31], a[52:55], v175, v169 op_sel_hi:[0,0,0] cbsz:4 blgp:4// 000000003910: D3AC7000 000353AF D3AD8C34 84D23978
	s_add_u32 s20, s20, s68                                    // 000000003920: 80144414
	buffer_load_dwordx4 v[112:115], v187, s[16:19], 0 offen offset:1024// 000000003924: E05C1400 800470BB
	v_mfma_scale_f32_16x16x128_f8f6f4 a[56:59], v[124:127], v[24:27], a[56:59], v175, v169 op_sel_hi:[0,0,0] cbsz:4 blgp:4// 00000000392C: D3AC6800 000353AF D3AD8C38 84E2317C
	s_addc_u32 s21, 0, s21                                     // 00000000393C: 82151580
	ds_read_b128 v[64:67], v182 offset:64                      // 000000003940: D9FE0040 400000B6
	v_mfma_scale_f32_16x16x128_f8f6f4 a[60:63], v[124:127], v[28:31], a[60:63], v175, v169 op_sel_hi:[0,0,0] cbsz:4 blgp:4// 000000003948: D3AC7800 000353AF D3AD8C3C 84F2397C
	s_sub_u32 s22, s22, s68                                    // 000000003958: 80964416
	buffer_load_dwordx4 v[116:119], v188, s[16:19], 0 offen offset:1024// 00000000395C: E05C1400 800474BC
	v_mfma_scale_f32_16x16x128_f8f6f4 a[48:51], v[128:131], v[32:35], a[48:51], v175, v169 op_sel_hi:[0,0,0] cbsz:4 blgp:4// 000000003964: D3AC6000 180353AF D3AD8C30 84C24180
	s_addk_i32 s60, 0x100                                      // 000000003974: B73C0100
	ds_read_b128 v[60:63], v182 offset:512                     // 000000003978: D9FE0200 3C0000B6
	v_mfma_scale_f32_16x16x128_f8f6f4 a[52:55], v[128:131], v[36:39], a[52:55], v175, v169 op_sel_hi:[0,0,0] cbsz:4 blgp:4// 000000003980: D3AC7000 180353AF D3AD8C34 84D24980
	s_cmp_lt_i32 s60, s61                                      // 000000003990: BF043D3C
	buffer_load_dword v174, v191, s[24:27], 0 offen            // 000000003994: E0501000 8006AEBF
	v_mfma_scale_f32_16x16x128_f8f6f4 a[56:59], v[132:135], v[32:35], a[56:59], v175, v169 op_sel_hi:[0,0,0] cbsz:4 blgp:4// 00000000399C: D3AC6800 180353AF D3AD8C38 84E24184
	ds_read_b128 v[68:71], v182 offset:576                     // 0000000039AC: D9FE0240 440000B6
	v_mfma_scale_f32_16x16x128_f8f6f4 a[60:63], v[132:135], v[36:39], a[60:63], v175, v169 op_sel_hi:[0,0,0] cbsz:4 blgp:4// 0000000039B4: D3AC7800 180353AF D3AD8C3C 84F24984
	ds_read_b32 v171, v186 offset:1024                         // 0000000039C4: D86C0400 AB0000BA
	v_mfma_scale_f32_16x16x128_f8f6f4 a[80:83], v[120:123], v[40:43], a[80:83], v175, v170 op_sel_hi:[0,0,0] cbsz:4 blgp:4// 0000000039CC: D3AC6000 000355AF D3AD8C50 85425178
	ds_read_b128 v[72:75], v182 offset:4224                    // 0000000039DC: D9FE1080 480000B6
	v_mfma_scale_f32_16x16x128_f8f6f4 a[84:87], v[120:123], v[44:47], a[84:87], v175, v170 op_sel_hi:[0,0,0] cbsz:4 blgp:4// 0000000039E4: D3AC7000 000355AF D3AD8C54 85525978
	v_mfma_scale_f32_16x16x128_f8f6f4 a[88:91], v[124:127], v[40:43], a[88:91], v175, v170 op_sel_hi:[0,0,0] cbsz:4 blgp:4// 0000000039F4: D3AC6800 000355AF D3AD8C58 8562517C
	ds_read_b128 v[80:83], v182 offset:4288                    // 000000003A04: D9FE10C0 500000B6
	v_mfma_scale_f32_16x16x128_f8f6f4 a[92:95], v[124:127], v[44:47], a[92:95], v175, v170 op_sel_hi:[0,0,0] cbsz:4 blgp:4// 000000003A0C: D3AC7800 000355AF D3AD8C5C 8572597C
	v_mfma_scale_f32_16x16x128_f8f6f4 a[80:83], v[128:131], v[48:51], a[80:83], v175, v170 op_sel_hi:[0,0,0] cbsz:4 blgp:4// 000000003A1C: D3AC6000 180355AF D3AD8C50 85426180
	ds_read_b128 v[76:79], v182 offset:4736                    // 000000003A2C: D9FE1280 4C0000B6
	v_mfma_scale_f32_16x16x128_f8f6f4 a[84:87], v[128:131], v[52:55], a[84:87], v175, v170 op_sel_hi:[0,0,0] cbsz:4 blgp:4// 000000003A34: D3AC7000 180355AF D3AD8C54 85526980
	v_mfma_scale_f32_16x16x128_f8f6f4 a[88:91], v[132:135], v[48:51], a[88:91], v175, v170 op_sel_hi:[0,0,0] cbsz:4 blgp:4// 000000003A44: D3AC6800 180355AF D3AD8C58 85626184
	ds_read_b128 v[84:87], v182 offset:4800                    // 000000003A54: D9FE12C0 540000B6
	v_mfma_scale_f32_16x16x128_f8f6f4 a[92:95], v[132:135], v[52:55], a[92:95], v175, v170 op_sel_hi:[0,0,0] cbsz:4 blgp:4// 000000003A5C: D3AC7800 180355AF D3AD8C5C 85726984
	ds_read_b32 v172, v186 offset:1280                         // 000000003A6C: D86C0500 AC0000BA
	s_cbranch_scc0 label_0B8A                                  // 000000003A74: BF8407EC
	s_waitcnt vmcnt(14) lgkmcnt(5)                             // 000000003A78: BF8C057E
	s_barrier                                                  // 000000003A7C: BF8A0000
	v_mfma_scale_f32_16x16x128_f8f6f4 a[0:3], v[136:139], v[56:59], a[0:3], v176, v171 op_sel_hi:[0,0,0] cbsz:4 blgp:4// 000000003A80: D3AC6000 000357B0 D3AD8C00 84027188
	s_add_u32 s63, 0x200, s60                                  // 000000003A90: 803F3CFF 00000200
	ds_read_b128 v[88:91], v182 offset:8448                    // 000000003A98: D9FE2100 580000B6
	v_mfma_scale_f32_16x16x128_f8f6f4 a[4:7], v[136:139], v[60:63], a[4:7], v176, v171 op_sel_hi:[0,0,0] cbsz:4 blgp:4// 000000003AA0: D3AC7000 000357B0 D3AD8C04 84127988
	s_cmp_lt_u32 s63, s61                                      // 000000003AB0: BF0A3D3F
	buffer_load_dwordx4 v[120:123], v189, s[16:19], 0 offen    // 000000003AB4: E05C1000 800478BD
	v_mfma_scale_f32_16x16x128_f8f6f4 a[8:11], v[140:143], v[56:59], a[8:11], v176, v171 op_sel_hi:[0,0,0] cbsz:4 blgp:4// 000000003ABC: D3AC6800 000357B0 D3AD8C08 8422718C
	s_cselect_b32 s67, s67, 0                                  // 000000003ACC: 85438043
	ds_read_b128 v[96:99], v182 offset:8512                    // 000000003AD0: D9FE2140 600000B6
	v_mfma_scale_f32_16x16x128_f8f6f4 a[12:15], v[140:143], v[60:63], a[12:15], v176, v171 op_sel_hi:[0,0,0] cbsz:4 blgp:4// 000000003AD8: D3AC7800 000357B0 D3AD8C0C 8432798C
	s_cselect_b32 s69, s69, 0                                  // 000000003AE8: 85458045
	buffer_load_dwordx4 v[124:127], v190, s[16:19], 0 offen    // 000000003AEC: E05C1000 80047CBE
	v_mfma_scale_f32_16x16x128_f8f6f4 a[0:3], v[144:147], v[64:67], a[0:3], v176, v171 op_sel_hi:[0,0,0] cbsz:4 blgp:4// 000000003AF4: D3AC6000 180357B0 D3AD8C00 84028190
	ds_read_b128 v[92:95], v182 offset:8960                    // 000000003B04: D9FE2300 5C0000B6
	v_mfma_scale_f32_16x16x128_f8f6f4 a[4:7], v[144:147], v[68:71], a[4:7], v176, v171 op_sel_hi:[0,0,0] cbsz:4 blgp:4// 000000003B0C: D3AC7000 180357B0 D3AD8C04 84128990
	buffer_load_dwordx4 v[128:131], v189, s[16:19], 0 offen offset:1024// 000000003B1C: E05C1400 800480BD
	v_mfma_scale_f32_16x16x128_f8f6f4 a[8:11], v[148:151], v[64:67], a[8:11], v176, v171 op_sel_hi:[0,0,0] cbsz:4 blgp:4// 000000003B24: D3AC6800 180357B0 D3AD8C08 84228194
	ds_read_b128 v[100:103], v182 offset:9024                  // 000000003B34: D9FE2340 640000B6
	v_mfma_scale_f32_16x16x128_f8f6f4 a[12:15], v[148:151], v[68:71], a[12:15], v176, v171 op_sel_hi:[0,0,0] cbsz:4 blgp:4// 000000003B3C: D3AC7800 180357B0 D3AD8C0C 84328994
	buffer_load_dwordx4 v[132:135], v190, s[16:19], 0 offen offset:1024// 000000003B4C: E05C1400 800484BE
	ds_read_b32 v173, v186 offset:1536                         // 000000003B54: D86C0600 AD0000BA
	s_waitcnt lgkmcnt(5)                                       // 000000003B5C: BF8CC57F
	v_mfma_scale_f32_16x16x128_f8f6f4 a[32:35], v[136:139], v[72:75], a[32:35], v176, v172 op_sel_hi:[0,0,0] cbsz:4 blgp:4// 000000003B60: D3AC6000 000359B0 D3AD8C20 84829188
	v_mfma_scale_f32_16x16x128_f8f6f4 a[36:39], v[136:139], v[76:79], a[36:39], v176, v172 op_sel_hi:[0,0,0] cbsz:4 blgp:4// 000000003B70: D3AC7000 000359B0 D3AD8C24 84929988
	buffer_load_dword v175, v192, s[24:27], 0 offen            // 000000003B80: E0501000 8006AFC0
	v_mfma_scale_f32_16x16x128_f8f6f4 a[40:43], v[140:143], v[72:75], a[40:43], v176, v172 op_sel_hi:[0,0,0] cbsz:4 blgp:4// 000000003B88: D3AC6800 000359B0 D3AD8C28 84A2918C
	s_add_u32 s16, s16, s67                                    // 000000003B98: 80104310
	s_addc_u32 s17, 0, s17                                     // 000000003B9C: 82111180
	v_mfma_scale_f32_16x16x128_f8f6f4 a[44:47], v[140:143], v[76:79], a[44:47], v176, v172 op_sel_hi:[0,0,0] cbsz:4 blgp:4// 000000003BA0: D3AC7800 000359B0 D3AD8C2C 84B2998C
	s_sub_u32 s18, s18, s67                                    // 000000003BB0: 80924312
	s_add_u32 s24, s24, s69                                    // 000000003BB4: 80184518
	v_mfma_scale_f32_16x16x128_f8f6f4 a[32:35], v[144:147], v[80:83], a[32:35], v176, v172 op_sel_hi:[0,0,0] cbsz:4 blgp:4// 000000003BB8: D3AC6000 180359B0 D3AD8C20 8482A190
	s_addc_u32 s25, 0, s25                                     // 000000003BC8: 82191980
	s_sub_u32 s26, s26, s69                                    // 000000003BCC: 809A451A
	v_mfma_scale_f32_16x16x128_f8f6f4 a[36:39], v[144:147], v[84:87], a[36:39], v176, v172 op_sel_hi:[0,0,0] cbsz:4 blgp:4// 000000003BD0: D3AC7000 180359B0 D3AD8C24 8492A990
	s_add_u32 m0, 0xc00, s65                                   // 000000003BE0: 807C41FF 00000C00
	buffer_load_dword v185, s[20:23], 0 offen lds              // 000000003BE8: E0511000 800500B9
	v_mfma_scale_f32_16x16x128_f8f6f4 a[40:43], v[148:151], v[80:83], a[40:43], v176, v172 op_sel_hi:[0,0,0] cbsz:4 blgp:4// 000000003BF0: D3AC6800 180359B0 D3AD8C28 84A2A194
	v_mfma_scale_f32_16x16x128_f8f6f4 a[44:47], v[148:151], v[84:87], a[44:47], v176, v172 op_sel_hi:[0,0,0] cbsz:4 blgp:4// 000000003C00: D3AC7800 180359B0 D3AD8C2C 84B2A994
	s_add_u32 m0, 0x9480, s64                                  // 000000003C10: 807C40FF 00009480
	buffer_load_dwordx4 v178, s[12:15], 0 offen lds            // 000000003C18: E05D1000 800300B2
	s_waitcnt lgkmcnt(0)                                       // 000000003C20: BF8CC07F
	v_mfma_scale_f32_16x16x128_f8f6f4 a[64:67], v[136:139], v[88:91], a[64:67], v176, v173 op_sel_hi:[0,0,0] cbsz:4 blgp:4// 000000003C24: D3AC6000 00035BB0 D3AD8C40 8502B188
	v_mfma_scale_f32_16x16x128_f8f6f4 a[68:71], v[136:139], v[92:95], a[68:71], v176, v173 op_sel_hi:[0,0,0] cbsz:4 blgp:4// 000000003C34: D3AC7000 00035BB0 D3AD8C44 8512B988
	v_mfma_scale_f32_16x16x128_f8f6f4 a[72:75], v[140:143], v[88:91], a[72:75], v176, v173 op_sel_hi:[0,0,0] cbsz:4 blgp:4// 000000003C44: D3AC6800 00035BB0 D3AD8C48 8522B18C
	v_mfma_scale_f32_16x16x128_f8f6f4 a[76:79], v[140:143], v[92:95], a[76:79], v176, v173 op_sel_hi:[0,0,0] cbsz:4 blgp:4// 000000003C54: D3AC7800 00035BB0 D3AD8C4C 8532B98C
	v_mfma_scale_f32_16x16x128_f8f6f4 a[64:67], v[144:147], v[96:99], a[64:67], v176, v173 op_sel_hi:[0,0,0] cbsz:4 blgp:4// 000000003C64: D3AC6000 18035BB0 D3AD8C40 8502C190
	v_mfma_scale_f32_16x16x128_f8f6f4 a[68:71], v[144:147], v[100:103], a[68:71], v176, v173 op_sel_hi:[0,0,0] cbsz:4 blgp:4// 000000003C74: D3AC7000 18035BB0 D3AD8C44 8512C990
	v_mfma_scale_f32_16x16x128_f8f6f4 a[72:75], v[148:151], v[96:99], a[72:75], v176, v173 op_sel_hi:[0,0,0] cbsz:4 blgp:4// 000000003C84: D3AC6800 18035BB0 D3AD8C48 8522C194
	v_mfma_scale_f32_16x16x128_f8f6f4 a[76:79], v[148:151], v[100:103], a[76:79], v176, v173 op_sel_hi:[0,0,0] cbsz:4 blgp:4// 000000003C94: D3AC7800 18035BB0 D3AD8C4C 8532C994
	s_waitcnt vmcnt(16)                                        // 000000003CA4: BF8C4F70
	v_mfma_scale_f32_16x16x128_f8f6f4 a[16:19], v[152:155], v[56:59], a[16:19], v177, v171 op_sel_hi:[0,0,0] cbsz:4 blgp:4// 000000003CA8: D3AC6000 000357B1 D3AD8C10 84427198
	v_mfma_scale_f32_16x16x128_f8f6f4 a[20:23], v[152:155], v[60:63], a[20:23], v177, v171 op_sel_hi:[0,0,0] cbsz:4 blgp:4// 000000003CB8: D3AC5000 000357B1 D3AD8C14 84527998
	s_add_u32 m0, 0xa500, s64                                  // 000000003CC8: 807C40FF 0000A500
	buffer_load_dwordx4 v179, s[12:15], 0 offen lds            // 000000003CD0: E05D1000 800300B3
	v_mfma_scale_f32_16x16x128_f8f6f4 a[24:27], v[156:159], v[56:59], a[24:27], v177, v171 op_sel_hi:[0,0,0] cbsz:4 blgp:4// 000000003CD8: D3AC6800 000357B1 D3AD8C18 8462719C
	v_mfma_scale_f32_16x16x128_f8f6f4 a[28:31], v[156:159], v[60:63], a[28:31], v177, v171 op_sel_hi:[0,0,0] cbsz:4 blgp:4// 000000003CE8: D3AC5800 000357B1 D3AD8C1C 8472799C
	s_add_u32 m0, 0xb580, s64                                  // 000000003CF8: 807C40FF 0000B580
	buffer_load_dwordx4 v180, s[12:15], 0 offen lds            // 000000003D00: E05D1000 800300B4
	v_mfma_scale_f32_16x16x128_f8f6f4 a[16:19], v[160:163], v[64:67], a[16:19], v177, v171 op_sel_hi:[0,0,0] cbsz:4 blgp:4// 000000003D08: D3AC6000 180357B1 D3AD8C10 844281A0
	s_add_u32 s62, 0x300, s60                                  // 000000003D18: 803E3CFF 00000300
	s_cmp_lt_u32 s62, s61                                      // 000000003D20: BF0A3D3E
	v_mfma_scale_f32_16x16x128_f8f6f4 a[20:23], v[160:163], v[68:71], a[20:23], v177, v171 op_sel_hi:[0,0,0] cbsz:4 blgp:4// 000000003D24: D3AC7000 180357B1 D3AD8C14 845289A0
	s_cselect_b32 s66, s66, 0                                  // 000000003D34: 85428042
	buffer_load_dwordx4 v[136:139], v187, s[16:19], 0 offen    // 000000003D38: E05C1000 800488BB
	v_mfma_scale_f32_16x16x128_f8f6f4 a[24:27], v[164:167], v[64:67], a[24:27], v177, v171 op_sel_hi:[0,0,0] cbsz:4 blgp:4// 000000003D40: D3AC6800 180357B1 D3AD8C18 846281A4
	s_cselect_b32 s68, s68, 0                                  // 000000003D50: 85448044
	s_add_u32 s12, s12, s66                                    // 000000003D54: 800C420C
	v_mfma_scale_f32_16x16x128_f8f6f4 a[28:31], v[164:167], v[68:71], a[28:31], v177, v171 op_sel_hi:[0,0,0] cbsz:4 blgp:4// 000000003D58: D3AC5800 180357B1 D3AD8C1C 847289A4
	s_addc_u32 s13, 0, s13                                     // 000000003D68: 820D0D80
	buffer_load_dwordx4 v[140:143], v188, s[16:19], 0 offen    // 000000003D6C: E05C1000 80048CBC
	s_waitcnt vmcnt(17)                                        // 000000003D74: BF8C4F71
	s_barrier                                                  // 000000003D78: BF8A0000
	v_mfma_scale_f32_16x16x128_f8f6f4 a[48:51], v[152:155], v[72:75], a[48:51], v177, v172 op_sel_hi:[0,0,0] cbsz:4 blgp:4// 000000003D7C: D3AC6000 000359B1 D3AD8C30 84C29198
	s_sub_u32 s14, s14, s66                                    // 000000003D8C: 808E420E
	ds_read_b128 v[8:11], v183                                 // 000000003D90: D9FE0000 080000B7
	v_mfma_scale_f32_16x16x128_f8f6f4 a[52:55], v[152:155], v[76:79], a[52:55], v177, v172 op_sel_hi:[0,0,0] cbsz:4 blgp:4// 000000003D98: D3AC7000 000359B1 D3AD8C34 84D29998
	s_add_u32 s20, s20, s68                                    // 000000003DA8: 80144414
	buffer_load_dwordx4 v[144:147], v187, s[16:19], 0 offen offset:1024// 000000003DAC: E05C1400 800490BB
	v_mfma_scale_f32_16x16x128_f8f6f4 a[56:59], v[156:159], v[72:75], a[56:59], v177, v172 op_sel_hi:[0,0,0] cbsz:4 blgp:4// 000000003DB4: D3AC4800 000359B1 D3AD8C38 84E2919C
	s_addc_u32 s21, 0, s21                                     // 000000003DC4: 82151580
	ds_read_b128 v[16:19], v183 offset:64                      // 000000003DC8: D9FE0040 100000B7
	v_mfma_scale_f32_16x16x128_f8f6f4 a[60:63], v[156:159], v[76:79], a[60:63], v177, v172 op_sel_hi:[0,0,0] cbsz:4 blgp:4// 000000003DD0: D3AC7800 000359B1 D3AD8C3C 84F2999C
	s_sub_u32 s22, s22, s68                                    // 000000003DE0: 80964416
	buffer_load_dwordx4 v[148:151], v188, s[16:19], 0 offen offset:1024// 000000003DE4: E05C1400 800494BC
	v_mfma_scale_f32_16x16x128_f8f6f4 a[48:51], v[160:163], v[80:83], a[48:51], v177, v172 op_sel_hi:[0,0,0] cbsz:4 blgp:4// 000000003DEC: D3AC6000 180359B1 D3AD8C30 84C2A1A0
	s_addk_i32 s60, 0x100                                      // 000000003DFC: B73C0100
	ds_read_b128 v[12:15], v183 offset:512                     // 000000003E00: D9FE0200 0C0000B7
	v_mfma_scale_f32_16x16x128_f8f6f4 a[52:55], v[160:163], v[84:87], a[52:55], v177, v172 op_sel_hi:[0,0,0] cbsz:4 blgp:4// 000000003E08: D3AC7000 180359B1 D3AD8C34 84D2A9A0
	s_cmp_lt_i32 s60, s61                                      // 000000003E18: BF043D3C
	buffer_load_dword v176, v191, s[24:27], 0 offen            // 000000003E1C: E0501000 8006B0BF
	v_mfma_scale_f32_16x16x128_f8f6f4 a[56:59], v[164:167], v[80:83], a[56:59], v177, v172 op_sel_hi:[0,0,0] cbsz:4 blgp:4// 000000003E24: D3AC6800 180359B1 D3AD8C38 84E2A1A4
	ds_read_b128 v[20:23], v183 offset:576                     // 000000003E34: D9FE0240 140000B7
	v_mfma_scale_f32_16x16x128_f8f6f4 a[60:63], v[164:167], v[84:87], a[60:63], v177, v172 op_sel_hi:[0,0,0] cbsz:4 blgp:4// 000000003E3C: D3AC7800 180359B1 D3AD8C3C 84F2A9A4
	ds_read_b32 v168, v186 offset:2048                         // 000000003E4C: D86C0800 A80000BA
	v_mfma_scale_f32_16x16x128_f8f6f4 a[80:83], v[152:155], v[88:91], a[80:83], v177, v173 op_sel_hi:[0,0,0] cbsz:4 blgp:4// 000000003E54: D3AC2000 00035BB1 D3AD8C50 8542B198
	ds_read_b128 v[24:27], v183 offset:4224                    // 000000003E64: D9FE1080 180000B7
	v_mfma_scale_f32_16x16x128_f8f6f4 a[84:87], v[152:155], v[92:95], a[84:87], v177, v173 op_sel_hi:[0,0,0] cbsz:4 blgp:4// 000000003E6C: D3AC7000 00035BB1 D3AD8C54 8552B998
	v_mfma_scale_f32_16x16x128_f8f6f4 a[88:91], v[156:159], v[88:91], a[88:91], v177, v173 op_sel_hi:[0,0,0] cbsz:4 blgp:4// 000000003E7C: D3AC6800 00035BB1 D3AD8C58 8562B19C
	ds_read_b128 v[32:35], v183 offset:4288                    // 000000003E8C: D9FE10C0 200000B7
	v_mfma_scale_f32_16x16x128_f8f6f4 a[92:95], v[156:159], v[92:95], a[92:95], v177, v173 op_sel_hi:[0,0,0] cbsz:4 blgp:4// 000000003E94: D3AC7800 00035BB1 D3AD8C5C 8572B99C
	v_mfma_scale_f32_16x16x128_f8f6f4 a[80:83], v[160:163], v[96:99], a[80:83], v177, v173 op_sel_hi:[0,0,0] cbsz:4 blgp:4// 000000003EA4: D3AC6000 18035BB1 D3AD8C50 8542C1A0
	ds_read_b128 v[28:31], v183 offset:4736                    // 000000003EB4: D9FE1280 1C0000B7
	v_mfma_scale_f32_16x16x128_f8f6f4 a[84:87], v[160:163], v[100:103], a[84:87], v177, v173 op_sel_hi:[0,0,0] cbsz:4 blgp:4// 000000003EBC: D3AC7000 18035BB1 D3AD8C54 8552C9A0
	v_mfma_scale_f32_16x16x128_f8f6f4 a[88:91], v[164:167], v[96:99], a[88:91], v177, v173 op_sel_hi:[0,0,0] cbsz:4 blgp:4// 000000003ECC: D3AC6800 18035BB1 D3AD8C58 8562C1A4
	ds_read_b128 v[36:39], v183 offset:4800                    // 000000003EDC: D9FE12C0 240000B7
	v_mfma_scale_f32_16x16x128_f8f6f4 a[92:95], v[164:167], v[100:103], a[92:95], v177, v173 op_sel_hi:[0,0,0] cbsz:4 blgp:4// 000000003EE4: D3AC7800 18035BB1 D3AD8C5C 8572C9A4
	ds_read_b32 v169, v186 offset:2304                         // 000000003EF4: D86C0900 A90000BA
	s_cbranch_scc0 label_0B8A                                  // 000000003EFC: BF8406CA
	s_waitcnt vmcnt(14) lgkmcnt(5)                             // 000000003F00: BF8C057E
	s_barrier                                                  // 000000003F04: BF8A0000
	v_mfma_scale_f32_16x16x128_f8f6f4 a[0:3], v[104:107], v[8:11], a[0:3], v174, v168 op_sel_hi:[0,0,0] cbsz:4 blgp:4// 000000003F08: D3AC6000 000351AE D3AD8C00 84021168
	s_add_u32 s63, 0x200, s60                                  // 000000003F18: 803F3CFF 00000200
	ds_read_b128 v[40:43], v183 offset:8448                    // 000000003F20: D9FE2100 280000B7
	v_mfma_scale_f32_16x16x128_f8f6f4 a[4:7], v[104:107], v[12:15], a[4:7], v174, v168 op_sel_hi:[0,0,0] cbsz:4 blgp:4// 000000003F28: D3AC7000 000351AE D3AD8C04 84121968
	s_cmp_lt_u32 s63, s61                                      // 000000003F38: BF0A3D3F
	buffer_load_dwordx4 v[152:155], v189, s[16:19], 0 offen    // 000000003F3C: E05C1000 800498BD
	v_mfma_scale_f32_16x16x128_f8f6f4 a[8:11], v[108:111], v[8:11], a[8:11], v174, v168 op_sel_hi:[0,0,0] cbsz:4 blgp:4// 000000003F44: D3AC6800 000351AE D3AD8C08 8422116C
	s_cselect_b32 s67, s67, 0                                  // 000000003F54: 85438043
	ds_read_b128 v[48:51], v183 offset:8512                    // 000000003F58: D9FE2140 300000B7
	v_mfma_scale_f32_16x16x128_f8f6f4 a[12:15], v[108:111], v[12:15], a[12:15], v174, v168 op_sel_hi:[0,0,0] cbsz:4 blgp:4// 000000003F60: D3AC7800 000351AE D3AD8C0C 8432196C
	s_cselect_b32 s69, s69, 0                                  // 000000003F70: 85458045
	buffer_load_dwordx4 v[156:159], v190, s[16:19], 0 offen    // 000000003F74: E05C1000 80049CBE
	v_mfma_scale_f32_16x16x128_f8f6f4 a[0:3], v[112:115], v[16:19], a[0:3], v174, v168 op_sel_hi:[0,0,0] cbsz:4 blgp:4// 000000003F7C: D3AC6000 180351AE D3AD8C00 84022170
	ds_read_b128 v[44:47], v183 offset:8960                    // 000000003F8C: D9FE2300 2C0000B7
	v_mfma_scale_f32_16x16x128_f8f6f4 a[4:7], v[112:115], v[20:23], a[4:7], v174, v168 op_sel_hi:[0,0,0] cbsz:4 blgp:4// 000000003F94: D3AC7000 180351AE D3AD8C04 84122970
	buffer_load_dwordx4 v[160:163], v189, s[16:19], 0 offen offset:1024// 000000003FA4: E05C1400 8004A0BD
	v_mfma_scale_f32_16x16x128_f8f6f4 a[8:11], v[116:119], v[16:19], a[8:11], v174, v168 op_sel_hi:[0,0,0] cbsz:4 blgp:4// 000000003FAC: D3AC6800 180351AE D3AD8C08 84222174
	ds_read_b128 v[52:55], v183 offset:9024                    // 000000003FBC: D9FE2340 340000B7
	v_mfma_scale_f32_16x16x128_f8f6f4 a[12:15], v[116:119], v[20:23], a[12:15], v174, v168 op_sel_hi:[0,0,0] cbsz:4 blgp:4// 000000003FC4: D3AC7800 180351AE D3AD8C0C 84322974
	buffer_load_dwordx4 v[164:167], v190, s[16:19], 0 offen offset:1024// 000000003FD4: E05C1400 8004A4BE
	ds_read_b32 v170, v186 offset:2560                         // 000000003FDC: D86C0A00 AA0000BA
	s_waitcnt lgkmcnt(5)                                       // 000000003FE4: BF8CC57F
	v_mfma_scale_f32_16x16x128_f8f6f4 a[32:35], v[104:107], v[24:27], a[32:35], v174, v169 op_sel_hi:[0,0,0] cbsz:4 blgp:4// 000000003FE8: D3AC6000 000353AE D3AD8C20 84823168
	v_mfma_scale_f32_16x16x128_f8f6f4 a[36:39], v[104:107], v[28:31], a[36:39], v174, v169 op_sel_hi:[0,0,0] cbsz:4 blgp:4// 000000003FF8: D3AC7000 000353AE D3AD8C24 84923968
	buffer_load_dword v177, v192, s[24:27], 0 offen            // 000000004008: E0501000 8006B1C0
	v_mfma_scale_f32_16x16x128_f8f6f4 a[40:43], v[108:111], v[24:27], a[40:43], v174, v169 op_sel_hi:[0,0,0] cbsz:4 blgp:4// 000000004010: D3AC6800 000353AE D3AD8C28 84A2316C
	s_add_u32 s16, s16, s67                                    // 000000004020: 80104310
	s_addc_u32 s17, 0, s17                                     // 000000004024: 82111180
	v_mfma_scale_f32_16x16x128_f8f6f4 a[44:47], v[108:111], v[28:31], a[44:47], v174, v169 op_sel_hi:[0,0,0] cbsz:4 blgp:4// 000000004028: D3AC7800 000353AE D3AD8C2C 84B2396C
	s_sub_u32 s18, s18, s67                                    // 000000004038: 80924312
	s_add_u32 s24, s24, s69                                    // 00000000403C: 80184518
	v_mfma_scale_f32_16x16x128_f8f6f4 a[32:35], v[112:115], v[32:35], a[32:35], v174, v169 op_sel_hi:[0,0,0] cbsz:4 blgp:4// 000000004040: D3AC6000 180353AE D3AD8C20 84824170
	s_addc_u32 s25, 0, s25                                     // 000000004050: 82191980
	s_sub_u32 s26, s26, s69                                    // 000000004054: 809A451A
	v_mfma_scale_f32_16x16x128_f8f6f4 a[36:39], v[112:115], v[36:39], a[36:39], v174, v169 op_sel_hi:[0,0,0] cbsz:4 blgp:4// 000000004058: D3AC7000 180353AE D3AD8C24 84924970
	s_add_u32 m0, 0, s65                                       // 000000004068: 807C4180
	buffer_load_dword v185, s[20:23], 0 offen lds              // 00000000406C: E0511000 800500B9
	v_mfma_scale_f32_16x16x128_f8f6f4 a[40:43], v[116:119], v[32:35], a[40:43], v174, v169 op_sel_hi:[0,0,0] cbsz:4 blgp:4// 000000004074: D3AC6800 180353AE D3AD8C28 84A24174
	v_mfma_scale_f32_16x16x128_f8f6f4 a[44:47], v[116:119], v[36:39], a[44:47], v174, v169 op_sel_hi:[0,0,0] cbsz:4 blgp:4// 000000004084: D3AC7800 180353AE D3AD8C2C 84B24974
	s_add_u32 m0, 0, s64                                       // 000000004094: 807C4080
	buffer_load_dwordx4 v178, s[12:15], 0 offen lds            // 000000004098: E05D1000 800300B2
	s_waitcnt lgkmcnt(0)                                       // 0000000040A0: BF8CC07F
	v_mfma_scale_f32_16x16x128_f8f6f4 a[64:67], v[104:107], v[40:43], a[64:67], v174, v170 op_sel_hi:[0,0,0] cbsz:4 blgp:4// 0000000040A4: D3AC6000 000355AE D3AD8C40 85025168
	v_mfma_scale_f32_16x16x128_f8f6f4 a[68:71], v[104:107], v[44:47], a[68:71], v174, v170 op_sel_hi:[0,0,0] cbsz:4 blgp:4// 0000000040B4: D3AC7000 000355AE D3AD8C44 85125968
	v_mfma_scale_f32_16x16x128_f8f6f4 a[72:75], v[108:111], v[40:43], a[72:75], v174, v170 op_sel_hi:[0,0,0] cbsz:4 blgp:4// 0000000040C4: D3AC6800 000355AE D3AD8C48 8522516C
	v_mfma_scale_f32_16x16x128_f8f6f4 a[76:79], v[108:111], v[44:47], a[76:79], v174, v170 op_sel_hi:[0,0,0] cbsz:4 blgp:4// 0000000040D4: D3AC7800 000355AE D3AD8C4C 8532596C
	v_mfma_scale_f32_16x16x128_f8f6f4 a[64:67], v[112:115], v[48:51], a[64:67], v174, v170 op_sel_hi:[0,0,0] cbsz:4 blgp:4// 0000000040E4: D3AC6000 180355AE D3AD8C40 85026170
	v_mfma_scale_f32_16x16x128_f8f6f4 a[68:71], v[112:115], v[52:55], a[68:71], v174, v170 op_sel_hi:[0,0,0] cbsz:4 blgp:4// 0000000040F4: D3AC7000 180355AE D3AD8C44 85126970
	v_mfma_scale_f32_16x16x128_f8f6f4 a[72:75], v[116:119], v[48:51], a[72:75], v174, v170 op_sel_hi:[0,0,0] cbsz:4 blgp:4// 000000004104: D3AC6800 180355AE D3AD8C48 85226174
	v_mfma_scale_f32_16x16x128_f8f6f4 a[76:79], v[116:119], v[52:55], a[76:79], v174, v170 op_sel_hi:[0,0,0] cbsz:4 blgp:4// 000000004114: D3AC7800 180355AE D3AD8C4C 85326974
	s_waitcnt vmcnt(16)                                        // 000000004124: BF8C4F70
	v_mfma_scale_f32_16x16x128_f8f6f4 a[16:19], v[120:123], v[8:11], a[16:19], v175, v168 op_sel_hi:[0,0,0] cbsz:4 blgp:4// 000000004128: D3AC6000 000351AF D3AD8C10 84421178
	v_mfma_scale_f32_16x16x128_f8f6f4 a[20:23], v[120:123], v[12:15], a[20:23], v175, v168 op_sel_hi:[0,0,0] cbsz:4 blgp:4// 000000004138: D3AC7000 000351AF D3AD8C14 84521978
	s_add_u32 m0, 0x1080, s64                                  // 000000004148: 807C40FF 00001080
	buffer_load_dwordx4 v179, s[12:15], 0 offen lds            // 000000004150: E05D1000 800300B3
	v_mfma_scale_f32_16x16x128_f8f6f4 a[24:27], v[124:127], v[8:11], a[24:27], v175, v168 op_sel_hi:[0,0,0] cbsz:4 blgp:4// 000000004158: D3AC6800 000351AF D3AD8C18 8462117C
	v_mfma_scale_f32_16x16x128_f8f6f4 a[28:31], v[124:127], v[12:15], a[28:31], v175, v168 op_sel_hi:[0,0,0] cbsz:4 blgp:4// 000000004168: D3AC7800 000351AF D3AD8C1C 8472197C
	s_add_u32 m0, 0x2100, s64                                  // 000000004178: 807C40FF 00002100
	buffer_load_dwordx4 v180, s[12:15], 0 offen lds            // 000000004180: E05D1000 800300B4
	v_mfma_scale_f32_16x16x128_f8f6f4 a[16:19], v[128:131], v[16:19], a[16:19], v175, v168 op_sel_hi:[0,0,0] cbsz:4 blgp:4// 000000004188: D3AC6000 180351AF D3AD8C10 84422180
	s_add_u32 s62, 0x300, s60                                  // 000000004198: 803E3CFF 00000300
	s_cmp_lt_u32 s62, s61                                      // 0000000041A0: BF0A3D3E
	v_mfma_scale_f32_16x16x128_f8f6f4 a[20:23], v[128:131], v[20:23], a[20:23], v175, v168 op_sel_hi:[0,0,0] cbsz:4 blgp:4// 0000000041A4: D3AC7000 180351AF D3AD8C14 84522980
	s_cselect_b32 s66, s66, 0                                  // 0000000041B4: 85428042
	buffer_load_dwordx4 v[104:107], v187, s[16:19], 0 offen    // 0000000041B8: E05C1000 800468BB
	v_mfma_scale_f32_16x16x128_f8f6f4 a[24:27], v[132:135], v[16:19], a[24:27], v175, v168 op_sel_hi:[0,0,0] cbsz:4 blgp:4// 0000000041C0: D3AC6800 180351AF D3AD8C18 84622184
	s_cselect_b32 s68, s68, 0                                  // 0000000041D0: 85448044
	s_add_u32 s12, s12, s66                                    // 0000000041D4: 800C420C
	v_mfma_scale_f32_16x16x128_f8f6f4 a[28:31], v[132:135], v[20:23], a[28:31], v175, v168 op_sel_hi:[0,0,0] cbsz:4 blgp:4// 0000000041D8: D3AC7800 180351AF D3AD8C1C 84722984
	s_addc_u32 s13, 0, s13                                     // 0000000041E8: 820D0D80
	buffer_load_dwordx4 v[108:111], v188, s[16:19], 0 offen    // 0000000041EC: E05C1000 80046CBC
	s_waitcnt vmcnt(17)                                        // 0000000041F4: BF8C4F71
	s_barrier                                                  // 0000000041F8: BF8A0000
	v_mfma_scale_f32_16x16x128_f8f6f4 a[48:51], v[120:123], v[24:27], a[48:51], v175, v169 op_sel_hi:[0,0,0] cbsz:4 blgp:4// 0000000041FC: D3AC6000 000353AF D3AD8C30 84C23178
	s_sub_u32 s14, s14, s66                                    // 00000000420C: 808E420E
	ds_read_b128 v[56:59], v184                                // 000000004210: D9FE0000 380000B8
	v_mfma_scale_f32_16x16x128_f8f6f4 a[52:55], v[120:123], v[28:31], a[52:55], v175, v169 op_sel_hi:[0,0,0] cbsz:4 blgp:4// 000000004218: D3AC7000 000353AF D3AD8C34 84D23978
	s_add_u32 s20, s20, s68                                    // 000000004228: 80144414
	buffer_load_dwordx4 v[112:115], v187, s[16:19], 0 offen offset:1024// 00000000422C: E05C1400 800470BB
	v_mfma_scale_f32_16x16x128_f8f6f4 a[56:59], v[124:127], v[24:27], a[56:59], v175, v169 op_sel_hi:[0,0,0] cbsz:4 blgp:4// 000000004234: D3AC6800 000353AF D3AD8C38 84E2317C
	s_addc_u32 s21, 0, s21                                     // 000000004244: 82151580
	ds_read_b128 v[64:67], v184 offset:64                      // 000000004248: D9FE0040 400000B8
	v_mfma_scale_f32_16x16x128_f8f6f4 a[60:63], v[124:127], v[28:31], a[60:63], v175, v169 op_sel_hi:[0,0,0] cbsz:4 blgp:4// 000000004250: D3AC7800 000353AF D3AD8C3C 84F2397C
	s_sub_u32 s22, s22, s68                                    // 000000004260: 80964416
	buffer_load_dwordx4 v[116:119], v188, s[16:19], 0 offen offset:1024// 000000004264: E05C1400 800474BC
	v_mfma_scale_f32_16x16x128_f8f6f4 a[48:51], v[128:131], v[32:35], a[48:51], v175, v169 op_sel_hi:[0,0,0] cbsz:4 blgp:4// 00000000426C: D3AC6000 180353AF D3AD8C30 84C24180
	s_addk_i32 s60, 0x100                                      // 00000000427C: B73C0100
	ds_read_b128 v[60:63], v184 offset:512                     // 000000004280: D9FE0200 3C0000B8
	v_mfma_scale_f32_16x16x128_f8f6f4 a[52:55], v[128:131], v[36:39], a[52:55], v175, v169 op_sel_hi:[0,0,0] cbsz:4 blgp:4// 000000004288: D3AC7000 180353AF D3AD8C34 84D24980
	s_cmp_lt_i32 s60, s61                                      // 000000004298: BF043D3C
	buffer_load_dword v174, v191, s[24:27], 0 offen            // 00000000429C: E0501000 8006AEBF
	v_mfma_scale_f32_16x16x128_f8f6f4 a[56:59], v[132:135], v[32:35], a[56:59], v175, v169 op_sel_hi:[0,0,0] cbsz:4 blgp:4// 0000000042A4: D3AC6800 180353AF D3AD8C38 84E24184
	ds_read_b128 v[68:71], v184 offset:576                     // 0000000042B4: D9FE0240 440000B8
	v_mfma_scale_f32_16x16x128_f8f6f4 a[60:63], v[132:135], v[36:39], a[60:63], v175, v169 op_sel_hi:[0,0,0] cbsz:4 blgp:4// 0000000042BC: D3AC7800 180353AF D3AD8C3C 84F24984
	ds_read_b32 v171, v186 offset:3072                         // 0000000042CC: D86C0C00 AB0000BA
	v_mfma_scale_f32_16x16x128_f8f6f4 a[80:83], v[120:123], v[40:43], a[80:83], v175, v170 op_sel_hi:[0,0,0] cbsz:4 blgp:4// 0000000042D4: D3AC6000 000355AF D3AD8C50 85425178
	ds_read_b128 v[72:75], v184 offset:4224                    // 0000000042E4: D9FE1080 480000B8
	v_mfma_scale_f32_16x16x128_f8f6f4 a[84:87], v[120:123], v[44:47], a[84:87], v175, v170 op_sel_hi:[0,0,0] cbsz:4 blgp:4// 0000000042EC: D3AC7000 000355AF D3AD8C54 85525978
	v_mfma_scale_f32_16x16x128_f8f6f4 a[88:91], v[124:127], v[40:43], a[88:91], v175, v170 op_sel_hi:[0,0,0] cbsz:4 blgp:4// 0000000042FC: D3AC6800 000355AF D3AD8C58 8562517C
	ds_read_b128 v[80:83], v184 offset:4288                    // 00000000430C: D9FE10C0 500000B8
	v_mfma_scale_f32_16x16x128_f8f6f4 a[92:95], v[124:127], v[44:47], a[92:95], v175, v170 op_sel_hi:[0,0,0] cbsz:4 blgp:4// 000000004314: D3AC7800 000355AF D3AD8C5C 8572597C
	v_mfma_scale_f32_16x16x128_f8f6f4 a[80:83], v[128:131], v[48:51], a[80:83], v175, v170 op_sel_hi:[0,0,0] cbsz:4 blgp:4// 000000004324: D3AC6000 180355AF D3AD8C50 85426180
	ds_read_b128 v[76:79], v184 offset:4736                    // 000000004334: D9FE1280 4C0000B8
	v_mfma_scale_f32_16x16x128_f8f6f4 a[84:87], v[128:131], v[52:55], a[84:87], v175, v170 op_sel_hi:[0,0,0] cbsz:4 blgp:4// 00000000433C: D3AC7000 180355AF D3AD8C54 85526980
	v_mfma_scale_f32_16x16x128_f8f6f4 a[88:91], v[132:135], v[48:51], a[88:91], v175, v170 op_sel_hi:[0,0,0] cbsz:4 blgp:4// 00000000434C: D3AC6800 180355AF D3AD8C58 85626184
	ds_read_b128 v[84:87], v184 offset:4800                    // 00000000435C: D9FE12C0 540000B8
	v_mfma_scale_f32_16x16x128_f8f6f4 a[92:95], v[132:135], v[52:55], a[92:95], v175, v170 op_sel_hi:[0,0,0] cbsz:4 blgp:4// 000000004364: D3AC7800 180355AF D3AD8C5C 85726984
	ds_read_b32 v172, v186 offset:3328                         // 000000004374: D86C0D00 AC0000BA
	s_cbranch_scc0 label_0B8A                                  // 00000000437C: BF8405AA
	s_waitcnt vmcnt(14) lgkmcnt(5)                             // 000000004380: BF8C057E
	s_barrier                                                  // 000000004384: BF8A0000
	v_mfma_scale_f32_16x16x128_f8f6f4 a[0:3], v[136:139], v[56:59], a[0:3], v176, v171 op_sel_hi:[0,0,0] cbsz:4 blgp:4// 000000004388: D3AC6000 000357B0 D3AD8C00 84027188
	s_add_u32 s63, 0x200, s60                                  // 000000004398: 803F3CFF 00000200
	ds_read_b128 v[88:91], v184 offset:8448                    // 0000000043A0: D9FE2100 580000B8
	v_mfma_scale_f32_16x16x128_f8f6f4 a[4:7], v[136:139], v[60:63], a[4:7], v176, v171 op_sel_hi:[0,0,0] cbsz:4 blgp:4// 0000000043A8: D3AC7000 000357B0 D3AD8C04 84127988
	s_cmp_lt_u32 s63, s61                                      // 0000000043B8: BF0A3D3F
	buffer_load_dwordx4 v[120:123], v189, s[16:19], 0 offen    // 0000000043BC: E05C1000 800478BD
	v_mfma_scale_f32_16x16x128_f8f6f4 a[8:11], v[140:143], v[56:59], a[8:11], v176, v171 op_sel_hi:[0,0,0] cbsz:4 blgp:4// 0000000043C4: D3AC6800 000357B0 D3AD8C08 8422718C
	s_cselect_b32 s67, s67, 0                                  // 0000000043D4: 85438043
	ds_read_b128 v[96:99], v184 offset:8512                    // 0000000043D8: D9FE2140 600000B8
	v_mfma_scale_f32_16x16x128_f8f6f4 a[12:15], v[140:143], v[60:63], a[12:15], v176, v171 op_sel_hi:[0,0,0] cbsz:4 blgp:4// 0000000043E0: D3AC7800 000357B0 D3AD8C0C 8432798C
	s_cselect_b32 s69, s69, 0                                  // 0000000043F0: 85458045
	buffer_load_dwordx4 v[124:127], v190, s[16:19], 0 offen    // 0000000043F4: E05C1000 80047CBE
	v_mfma_scale_f32_16x16x128_f8f6f4 a[0:3], v[144:147], v[64:67], a[0:3], v176, v171 op_sel_hi:[0,0,0] cbsz:4 blgp:4// 0000000043FC: D3AC6000 180357B0 D3AD8C00 84028190
	ds_read_b128 v[92:95], v184 offset:8960                    // 00000000440C: D9FE2300 5C0000B8
	v_mfma_scale_f32_16x16x128_f8f6f4 a[4:7], v[144:147], v[68:71], a[4:7], v176, v171 op_sel_hi:[0,0,0] cbsz:4 blgp:4// 000000004414: D3AC7000 180357B0 D3AD8C04 84128990
	buffer_load_dwordx4 v[128:131], v189, s[16:19], 0 offen offset:1024// 000000004424: E05C1400 800480BD
	v_mfma_scale_f32_16x16x128_f8f6f4 a[8:11], v[148:151], v[64:67], a[8:11], v176, v171 op_sel_hi:[0,0,0] cbsz:4 blgp:4// 00000000442C: D3AC6800 180357B0 D3AD8C08 84228194
	ds_read_b128 v[100:103], v184 offset:9024                  // 00000000443C: D9FE2340 640000B8
	v_mfma_scale_f32_16x16x128_f8f6f4 a[12:15], v[148:151], v[68:71], a[12:15], v176, v171 op_sel_hi:[0,0,0] cbsz:4 blgp:4// 000000004444: D3AC7800 180357B0 D3AD8C0C 84328994
	buffer_load_dwordx4 v[132:135], v190, s[16:19], 0 offen offset:1024// 000000004454: E05C1400 800484BE
	ds_read_b32 v173, v186 offset:3584                         // 00000000445C: D86C0E00 AD0000BA
	s_waitcnt lgkmcnt(5)                                       // 000000004464: BF8CC57F
	v_mfma_scale_f32_16x16x128_f8f6f4 a[32:35], v[136:139], v[72:75], a[32:35], v176, v172 op_sel_hi:[0,0,0] cbsz:4 blgp:4// 000000004468: D3AC6000 000359B0 D3AD8C20 84829188
	v_mfma_scale_f32_16x16x128_f8f6f4 a[36:39], v[136:139], v[76:79], a[36:39], v176, v172 op_sel_hi:[0,0,0] cbsz:4 blgp:4// 000000004478: D3AC7000 000359B0 D3AD8C24 84929988
	buffer_load_dword v175, v192, s[24:27], 0 offen            // 000000004488: E0501000 8006AFC0
	v_mfma_scale_f32_16x16x128_f8f6f4 a[40:43], v[140:143], v[72:75], a[40:43], v176, v172 op_sel_hi:[0,0,0] cbsz:4 blgp:4// 000000004490: D3AC6800 000359B0 D3AD8C28 84A2918C
	s_add_u32 s16, s16, s67                                    // 0000000044A0: 80104310
	s_addc_u32 s17, 0, s17                                     // 0000000044A4: 82111180
	v_mfma_scale_f32_16x16x128_f8f6f4 a[44:47], v[140:143], v[76:79], a[44:47], v176, v172 op_sel_hi:[0,0,0] cbsz:4 blgp:4// 0000000044A8: D3AC7800 000359B0 D3AD8C2C 84B2998C
	s_sub_u32 s18, s18, s67                                    // 0000000044B8: 80924312
	s_add_u32 s24, s24, s69                                    // 0000000044BC: 80184518
	v_mfma_scale_f32_16x16x128_f8f6f4 a[32:35], v[144:147], v[80:83], a[32:35], v176, v172 op_sel_hi:[0,0,0] cbsz:4 blgp:4// 0000000044C0: D3AC6000 180359B0 D3AD8C20 8482A190
	s_addc_u32 s25, 0, s25                                     // 0000000044D0: 82191980
	s_sub_u32 s26, s26, s69                                    // 0000000044D4: 809A451A
	v_mfma_scale_f32_16x16x128_f8f6f4 a[36:39], v[144:147], v[84:87], a[36:39], v176, v172 op_sel_hi:[0,0,0] cbsz:4 blgp:4// 0000000044D8: D3AC7000 180359B0 D3AD8C24 8492A990
	s_add_u32 m0, 0x400, s65                                   // 0000000044E8: 807C41FF 00000400
	buffer_load_dword v185, s[20:23], 0 offen lds              // 0000000044F0: E0511000 800500B9
	v_mfma_scale_f32_16x16x128_f8f6f4 a[40:43], v[148:151], v[80:83], a[40:43], v176, v172 op_sel_hi:[0,0,0] cbsz:4 blgp:4// 0000000044F8: D3AC6800 180359B0 D3AD8C28 84A2A194
	v_mfma_scale_f32_16x16x128_f8f6f4 a[44:47], v[148:151], v[84:87], a[44:47], v176, v172 op_sel_hi:[0,0,0] cbsz:4 blgp:4// 000000004508: D3AC7800 180359B0 D3AD8C2C 84B2A994
	s_add_u32 m0, 0x3180, s64                                  // 000000004518: 807C40FF 00003180
	buffer_load_dwordx4 v178, s[12:15], 0 offen lds            // 000000004520: E05D1000 800300B2
	s_waitcnt lgkmcnt(0)                                       // 000000004528: BF8CC07F
	v_mfma_scale_f32_16x16x128_f8f6f4 a[64:67], v[136:139], v[88:91], a[64:67], v176, v173 op_sel_hi:[0,0,0] cbsz:4 blgp:4// 00000000452C: D3AC6000 00035BB0 D3AD8C40 8502B188
	v_mfma_scale_f32_16x16x128_f8f6f4 a[68:71], v[136:139], v[92:95], a[68:71], v176, v173 op_sel_hi:[0,0,0] cbsz:4 blgp:4// 00000000453C: D3AC7000 00035BB0 D3AD8C44 8512B988
	v_mfma_scale_f32_16x16x128_f8f6f4 a[72:75], v[140:143], v[88:91], a[72:75], v176, v173 op_sel_hi:[0,0,0] cbsz:4 blgp:4// 00000000454C: D3AC6800 00035BB0 D3AD8C48 8522B18C
	v_mfma_scale_f32_16x16x128_f8f6f4 a[76:79], v[140:143], v[92:95], a[76:79], v176, v173 op_sel_hi:[0,0,0] cbsz:4 blgp:4// 00000000455C: D3AC7800 00035BB0 D3AD8C4C 8532B98C
	v_mfma_scale_f32_16x16x128_f8f6f4 a[64:67], v[144:147], v[96:99], a[64:67], v176, v173 op_sel_hi:[0,0,0] cbsz:4 blgp:4// 00000000456C: D3AC6000 18035BB0 D3AD8C40 8502C190
	v_mfma_scale_f32_16x16x128_f8f6f4 a[68:71], v[144:147], v[100:103], a[68:71], v176, v173 op_sel_hi:[0,0,0] cbsz:4 blgp:4// 00000000457C: D3AC7000 18035BB0 D3AD8C44 8512C990
	v_mfma_scale_f32_16x16x128_f8f6f4 a[72:75], v[148:151], v[96:99], a[72:75], v176, v173 op_sel_hi:[0,0,0] cbsz:4 blgp:4// 00000000458C: D3AC6800 18035BB0 D3AD8C48 8522C194
	v_mfma_scale_f32_16x16x128_f8f6f4 a[76:79], v[148:151], v[100:103], a[76:79], v176, v173 op_sel_hi:[0,0,0] cbsz:4 blgp:4// 00000000459C: D3AC7800 18035BB0 D3AD8C4C 8532C994
	s_waitcnt vmcnt(16)                                        // 0000000045AC: BF8C4F70
	v_mfma_scale_f32_16x16x128_f8f6f4 a[16:19], v[152:155], v[56:59], a[16:19], v177, v171 op_sel_hi:[0,0,0] cbsz:4 blgp:4// 0000000045B0: D3AC6000 000357B1 D3AD8C10 84427198
	v_mfma_scale_f32_16x16x128_f8f6f4 a[20:23], v[152:155], v[60:63], a[20:23], v177, v171 op_sel_hi:[0,0,0] cbsz:4 blgp:4// 0000000045C0: D3AC7000 000357B1 D3AD8C14 84527998
	s_add_u32 m0, 0x4200, s64                                  // 0000000045D0: 807C40FF 00004200
	buffer_load_dwordx4 v179, s[12:15], 0 offen lds            // 0000000045D8: E05D1000 800300B3
	v_mfma_scale_f32_16x16x128_f8f6f4 a[24:27], v[156:159], v[56:59], a[24:27], v177, v171 op_sel_hi:[0,0,0] cbsz:4 blgp:4// 0000000045E0: D3AC6800 000357B1 D3AD8C18 8462719C
	v_mfma_scale_f32_16x16x128_f8f6f4 a[28:31], v[156:159], v[60:63], a[28:31], v177, v171 op_sel_hi:[0,0,0] cbsz:4 blgp:4// 0000000045F0: D3AC7800 000357B1 D3AD8C1C 8472799C
	s_add_u32 m0, 0x5280, s64                                  // 000000004600: 807C40FF 00005280
	buffer_load_dwordx4 v180, s[12:15], 0 offen lds            // 000000004608: E05D1000 800300B4
	v_mfma_scale_f32_16x16x128_f8f6f4 a[16:19], v[160:163], v[64:67], a[16:19], v177, v171 op_sel_hi:[0,0,0] cbsz:4 blgp:4// 000000004610: D3AC6000 180357B1 D3AD8C10 844281A0
	s_add_u32 s62, 0x300, s60                                  // 000000004620: 803E3CFF 00000300
	s_cmp_lt_u32 s62, s61                                      // 000000004628: BF0A3D3E
	v_mfma_scale_f32_16x16x128_f8f6f4 a[20:23], v[160:163], v[68:71], a[20:23], v177, v171 op_sel_hi:[0,0,0] cbsz:4 blgp:4// 00000000462C: D3AC7000 180357B1 D3AD8C14 845289A0
	s_cselect_b32 s66, s66, 0                                  // 00000000463C: 85428042
	buffer_load_dwordx4 v[136:139], v187, s[16:19], 0 offen    // 000000004640: E05C1000 800488BB
	v_mfma_scale_f32_16x16x128_f8f6f4 a[24:27], v[164:167], v[64:67], a[24:27], v177, v171 op_sel_hi:[0,0,0] cbsz:4 blgp:4// 000000004648: D3AC6800 180357B1 D3AD8C18 846281A4
	s_cselect_b32 s68, s68, 0                                  // 000000004658: 85448044
	s_add_u32 s12, s12, s66                                    // 00000000465C: 800C420C
	v_mfma_scale_f32_16x16x128_f8f6f4 a[28:31], v[164:167], v[68:71], a[28:31], v177, v171 op_sel_hi:[0,0,0] cbsz:4 blgp:4// 000000004660: D3AC7800 180357B1 D3AD8C1C 847289A4
	s_addc_u32 s13, 0, s13                                     // 000000004670: 820D0D80
	buffer_load_dwordx4 v[140:143], v188, s[16:19], 0 offen    // 000000004674: E05C1000 80048CBC
	s_waitcnt vmcnt(17)                                        // 00000000467C: BF8C4F71
	s_barrier                                                  // 000000004680: BF8A0000
	v_mfma_scale_f32_16x16x128_f8f6f4 a[48:51], v[152:155], v[72:75], a[48:51], v177, v172 op_sel_hi:[0,0,0] cbsz:4 blgp:4// 000000004684: D3AC6000 000359B1 D3AD8C30 84C29198
	s_sub_u32 s14, s14, s66                                    // 000000004694: 808E420E
	ds_read_b128 v[8:11], v181                                 // 000000004698: D9FE0000 080000B5
	v_mfma_scale_f32_16x16x128_f8f6f4 a[52:55], v[152:155], v[76:79], a[52:55], v177, v172 op_sel_hi:[0,0,0] cbsz:4 blgp:4// 0000000046A0: D3AC7000 000359B1 D3AD8C34 84D29998
	s_add_u32 s20, s20, s68                                    // 0000000046B0: 80144414
	buffer_load_dwordx4 v[144:147], v187, s[16:19], 0 offen offset:1024// 0000000046B4: E05C1400 800490BB
	v_mfma_scale_f32_16x16x128_f8f6f4 a[56:59], v[156:159], v[72:75], a[56:59], v177, v172 op_sel_hi:[0,0,0] cbsz:4 blgp:4// 0000000046BC: D3AC6800 000359B1 D3AD8C38 84E2919C
	s_addc_u32 s21, 0, s21                                     // 0000000046CC: 82151580
	ds_read_b128 v[16:19], v181 offset:64                      // 0000000046D0: D9FE0040 100000B5
	v_mfma_scale_f32_16x16x128_f8f6f4 a[60:63], v[156:159], v[76:79], a[60:63], v177, v172 op_sel_hi:[0,0,0] cbsz:4 blgp:4// 0000000046D8: D3AC7800 000359B1 D3AD8C3C 84F2999C
	s_sub_u32 s22, s22, s68                                    // 0000000046E8: 80964416
	buffer_load_dwordx4 v[148:151], v188, s[16:19], 0 offen offset:1024// 0000000046EC: E05C1400 800494BC
	v_mfma_scale_f32_16x16x128_f8f6f4 a[48:51], v[160:163], v[80:83], a[48:51], v177, v172 op_sel_hi:[0,0,0] cbsz:4 blgp:4// 0000000046F4: D3AC6000 180359B1 D3AD8C30 84C2A1A0
	s_addk_i32 s60, 0x100                                      // 000000004704: B73C0100
	ds_read_b128 v[12:15], v181 offset:512                     // 000000004708: D9FE0200 0C0000B5
	v_mfma_scale_f32_16x16x128_f8f6f4 a[52:55], v[160:163], v[84:87], a[52:55], v177, v172 op_sel_hi:[0,0,0] cbsz:4 blgp:4// 000000004710: D3AC7000 180359B1 D3AD8C34 84D2A9A0
	s_cmp_lt_i32 s60, s61                                      // 000000004720: BF043D3C
	buffer_load_dword v176, v191, s[24:27], 0 offen            // 000000004724: E0501000 8006B0BF
	v_mfma_scale_f32_16x16x128_f8f6f4 a[56:59], v[164:167], v[80:83], a[56:59], v177, v172 op_sel_hi:[0,0,0] cbsz:4 blgp:4// 00000000472C: D3AC6800 180359B1 D3AD8C38 84E2A1A4
	ds_read_b128 v[20:23], v181 offset:576                     // 00000000473C: D9FE0240 140000B5
	v_mfma_scale_f32_16x16x128_f8f6f4 a[60:63], v[164:167], v[84:87], a[60:63], v177, v172 op_sel_hi:[0,0,0] cbsz:4 blgp:4// 000000004744: D3AC7800 180359B1 D3AD8C3C 84F2A9A4
	ds_read_b32 v168, v186                                     // 000000004754: D86C0000 A80000BA
	v_mfma_scale_f32_16x16x128_f8f6f4 a[80:83], v[152:155], v[88:91], a[80:83], v177, v173 op_sel_hi:[0,0,0] cbsz:4 blgp:4// 00000000475C: D3AC6000 00035BB1 D3AD8C50 8542B198
	ds_read_b128 v[24:27], v181 offset:4224                    // 00000000476C: D9FE1080 180000B5
	v_mfma_scale_f32_16x16x128_f8f6f4 a[84:87], v[152:155], v[92:95], a[84:87], v177, v173 op_sel_hi:[0,0,0] cbsz:4 blgp:4// 000000004774: D3AC7000 00035BB1 D3AD8C54 8552B998
	v_mfma_scale_f32_16x16x128_f8f6f4 a[88:91], v[156:159], v[88:91], a[88:91], v177, v173 op_sel_hi:[0,0,0] cbsz:4 blgp:4// 000000004784: D3AC6800 00035BB1 D3AD8C58 8562B19C
	ds_read_b128 v[32:35], v181 offset:4288                    // 000000004794: D9FE10C0 200000B5
	v_mfma_scale_f32_16x16x128_f8f6f4 a[92:95], v[156:159], v[92:95], a[92:95], v177, v173 op_sel_hi:[0,0,0] cbsz:4 blgp:4// 00000000479C: D3AC7800 00035BB1 D3AD8C5C 8572B99C
	v_mfma_scale_f32_16x16x128_f8f6f4 a[80:83], v[160:163], v[96:99], a[80:83], v177, v173 op_sel_hi:[0,0,0] cbsz:4 blgp:4// 0000000047AC: D3AC6000 18035BB1 D3AD8C50 8542C1A0
	ds_read_b128 v[28:31], v181 offset:4736                    // 0000000047BC: D9FE1280 1C0000B5
	v_mfma_scale_f32_16x16x128_f8f6f4 a[84:87], v[160:163], v[100:103], a[84:87], v177, v173 op_sel_hi:[0,0,0] cbsz:4 blgp:4// 0000000047C4: D3AC7000 18035BB1 D3AD8C54 8552C9A0
	v_mfma_scale_f32_16x16x128_f8f6f4 a[88:91], v[164:167], v[96:99], a[88:91], v177, v173 op_sel_hi:[0,0,0] cbsz:4 blgp:4// 0000000047D4: D3AC6800 18035BB1 D3AD8C58 8562C1A4
	ds_read_b128 v[36:39], v181 offset:4800                    // 0000000047E4: D9FE12C0 240000B5
	v_mfma_scale_f32_16x16x128_f8f6f4 a[92:95], v[164:167], v[100:103], a[92:95], v177, v173 op_sel_hi:[0,0,0] cbsz:4 blgp:4// 0000000047EC: D3AC7800 18035BB1 D3AD8C5C 8572C9A4
	ds_read_b32 v169, v186 offset:256                          // 0000000047FC: D86C0100 A90000BA
	s_cbranch_scc0 label_0B8A                                  // 000000004804: BF840488
	s_branch label_027C                                        // 000000004808: BF82FB79

000000000000480c <label_0703>:
	s_waitcnt vmcnt(14) lgkmcnt(5)                             // 00000000480C: BF8C057E
	s_barrier                                                  // 000000004810: BF8A0000
	v_mfma_scale_f32_16x16x128_f8f6f4 a[0:3], v[104:107], v[8:11], a[0:3], v174, v168 op_sel_hi:[0,0,0] cbsz:4 blgp:4// 000000004814: D3AC6000 000351AE D3AD8C00 84021168
	s_add_u32 s63, 0x200, s60                                  // 000000004824: 803F3CFF 00000200
	buffer_load_dwordx4 v[152:155], v189, s[16:19], 0 offen    // 00000000482C: E05C1000 800498BD
	v_mfma_scale_f32_16x16x128_f8f6f4 a[4:7], v[104:107], v[12:15], a[4:7], v174, v168 op_sel_hi:[0,0,0] cbsz:4 blgp:4// 000000004834: D3AC7000 000351AE D3AD8C04 84121968
	s_cmp_lt_u32 s63, s61                                      // 000000004844: BF0A3D3F
	ds_read_b128 v[40:43], v181 offset:8448                    // 000000004848: D9FE2100 280000B5
	v_mfma_scale_f32_16x16x128_f8f6f4 a[8:11], v[108:111], v[8:11], a[8:11], v174, v168 op_sel_hi:[0,0,0] cbsz:4 blgp:4// 000000004850: D3AC6800 000351AE D3AD8C08 8422116C
	s_cselect_b32 s67, s67, 0                                  // 000000004860: 85438043
	buffer_load_dwordx4 v[156:159], v190, s[16:19], 0 offen    // 000000004864: E05C1000 80049CBE
	v_mfma_scale_f32_16x16x128_f8f6f4 a[12:15], v[108:111], v[12:15], a[12:15], v174, v168 op_sel_hi:[0,0,0] cbsz:4 blgp:4// 00000000486C: D3AC7800 000351AE D3AD8C0C 8432196C
	s_cselect_b32 s69, s69, 0                                  // 00000000487C: 85458045
	ds_read_b128 v[48:51], v181 offset:8512                    // 000000004880: D9FE2140 300000B5
	v_mfma_scale_f32_16x16x128_f8f6f4 a[0:3], v[112:115], v[16:19], a[0:3], v174, v168 op_sel_hi:[0,0,0] cbsz:4 blgp:4// 000000004888: D3AC6000 180351AE D3AD8C00 84022170
	buffer_load_dwordx4 v[160:163], v189, s[16:19], 0 offen offset:1024// 000000004898: E05C1400 8004A0BD
	v_mfma_scale_f32_16x16x128_f8f6f4 a[4:7], v[112:115], v[20:23], a[4:7], v174, v168 op_sel_hi:[0,0,0] cbsz:4 blgp:4// 0000000048A0: D3AC7000 180351AE D3AD8C04 84122970
	ds_read_b128 v[44:47], v181 offset:8960                    // 0000000048B0: D9FE2300 2C0000B5
	v_mfma_scale_f32_16x16x128_f8f6f4 a[8:11], v[116:119], v[16:19], a[8:11], v174, v168 op_sel_hi:[0,0,0] cbsz:4 blgp:4// 0000000048B8: D3AC6800 180351AE D3AD8C08 84222174
	buffer_load_dwordx4 v[164:167], v190, s[16:19], 0 offen offset:1024// 0000000048C8: E05C1400 8004A4BE
	v_mfma_scale_f32_16x16x128_f8f6f4 a[12:15], v[116:119], v[20:23], a[12:15], v174, v168 op_sel_hi:[0,0,0] cbsz:4 blgp:4// 0000000048D0: D3AC7800 180351AE D3AD8C0C 84322974
	ds_read_b128 v[52:55], v181 offset:9024                    // 0000000048E0: D9FE2340 340000B5
	ds_read_b32 v170, v186 offset:512                          // 0000000048E8: D86C0200 AA0000BA
	s_waitcnt lgkmcnt(5)                                       // 0000000048F0: BF8CC57F
	v_mfma_scale_f32_16x16x128_f8f6f4 a[32:35], v[104:107], v[24:27], a[32:35], v174, v169 op_sel_hi:[0,0,0] cbsz:4 blgp:4// 0000000048F4: D3AC6000 000353AE D3AD8C20 84823168
	buffer_load_dword v177, v192, s[24:27], 0 offen            // 000000004904: E0501000 8006B1C0
	v_mfma_scale_f32_16x16x128_f8f6f4 a[36:39], v[104:107], v[28:31], a[36:39], v174, v169 op_sel_hi:[0,0,0] cbsz:4 blgp:4// 00000000490C: D3AC7000 000353AE D3AD8C24 84923968
	s_add_u32 s16, s16, s67                                    // 00000000491C: 80104310
	s_addc_u32 s17, 0, s17                                     // 000000004920: 82111180
	v_mfma_scale_f32_16x16x128_f8f6f4 a[40:43], v[108:111], v[24:27], a[40:43], v174, v169 op_sel_hi:[0,0,0] cbsz:4 blgp:4// 000000004924: D3AC6800 000353AE D3AD8C28 84A2316C
	s_sub_u32 s18, s18, s67                                    // 000000004934: 80924312
	s_add_u32 s24, s24, s69                                    // 000000004938: 80184518
	v_mfma_scale_f32_16x16x128_f8f6f4 a[44:47], v[108:111], v[28:31], a[44:47], v174, v169 op_sel_hi:[0,0,0] cbsz:4 blgp:4// 00000000493C: D3AC7800 000353AE D3AD8C2C 84B2396C
	s_addc_u32 s25, 0, s25                                     // 00000000494C: 82191980
	s_sub_u32 s26, s26, s69                                    // 000000004950: 809A451A
	v_mfma_scale_f32_16x16x128_f8f6f4 a[32:35], v[112:115], v[32:35], a[32:35], v174, v169 op_sel_hi:[0,0,0] cbsz:4 blgp:4// 000000004954: D3AC6000 180353AE D3AD8C20 84824170
	s_add_u32 m0, 0x800, s65                                   // 000000004964: 807C41FF 00000800
	buffer_load_dword v185, s[20:23], 0 offen lds              // 00000000496C: E0511000 800500B9
	v_mfma_scale_f32_16x16x128_f8f6f4 a[36:39], v[112:115], v[36:39], a[36:39], v174, v169 op_sel_hi:[0,0,0] cbsz:4 blgp:4// 000000004974: D3AC7000 180353AE D3AD8C24 84924970
	v_mfma_scale_f32_16x16x128_f8f6f4 a[40:43], v[116:119], v[32:35], a[40:43], v174, v169 op_sel_hi:[0,0,0] cbsz:4 blgp:4// 000000004984: D3AC6800 180353AE D3AD8C28 84A24174
	s_add_u32 m0, 0x6300, s64                                  // 000000004994: 807C40FF 00006300
	buffer_load_dwordx4 v178, s[12:15], 0 offen lds            // 00000000499C: E05D1000 800300B2
	v_mfma_scale_f32_16x16x128_f8f6f4 a[44:47], v[116:119], v[36:39], a[44:47], v174, v169 op_sel_hi:[0,0,0] cbsz:4 blgp:4// 0000000049A4: D3AC7800 180353AE D3AD8C2C 84B24974
	s_waitcnt lgkmcnt(0)                                       // 0000000049B4: BF8CC07F
	v_mfma_scale_f32_16x16x128_f8f6f4 a[64:67], v[104:107], v[40:43], a[64:67], v174, v170 op_sel_hi:[0,0,0] cbsz:4 blgp:4// 0000000049B8: D3AC6000 000355AE D3AD8C40 85025168
	v_mfma_scale_f32_16x16x128_f8f6f4 a[68:71], v[104:107], v[44:47], a[68:71], v174, v170 op_sel_hi:[0,0,0] cbsz:4 blgp:4// 0000000049C8: D3AC7000 000355AE D3AD8C44 85125968
	v_mfma_scale_f32_16x16x128_f8f6f4 a[72:75], v[108:111], v[40:43], a[72:75], v174, v170 op_sel_hi:[0,0,0] cbsz:4 blgp:4// 0000000049D8: D3AC6800 000355AE D3AD8C48 8522516C
	v_mfma_scale_f32_16x16x128_f8f6f4 a[76:79], v[108:111], v[44:47], a[76:79], v174, v170 op_sel_hi:[0,0,0] cbsz:4 blgp:4// 0000000049E8: D3AC7800 000355AE D3AD8C4C 8532596C
	v_mfma_scale_f32_16x16x128_f8f6f4 a[64:67], v[112:115], v[48:51], a[64:67], v174, v170 op_sel_hi:[0,0,0] cbsz:4 blgp:4// 0000000049F8: D3AC6000 180355AE D3AD8C40 85026170
	v_mfma_scale_f32_16x16x128_f8f6f4 a[68:71], v[112:115], v[52:55], a[68:71], v174, v170 op_sel_hi:[0,0,0] cbsz:4 blgp:4// 000000004A08: D3AC7000 180355AE D3AD8C44 85126970
	v_mfma_scale_f32_16x16x128_f8f6f4 a[72:75], v[116:119], v[48:51], a[72:75], v174, v170 op_sel_hi:[0,0,0] cbsz:4 blgp:4// 000000004A18: D3AC6800 180355AE D3AD8C48 85226174
	v_mfma_scale_f32_16x16x128_f8f6f4 a[76:79], v[116:119], v[52:55], a[76:79], v174, v170 op_sel_hi:[0,0,0] cbsz:4 blgp:4// 000000004A28: D3AC7800 180355AE D3AD8C4C 85326974
	s_waitcnt vmcnt(16)                                        // 000000004A38: BF8C4F70
	v_mfma_scale_f32_16x16x128_f8f6f4 a[16:19], v[120:123], v[8:11], a[16:19], v175, v168 op_sel_hi:[0,0,0] cbsz:4 blgp:4// 000000004A3C: D3AC6000 000351AF D3AD8C10 84421178
	s_add_u32 m0, 0x7380, s64                                  // 000000004A4C: 807C40FF 00007380
	buffer_load_dwordx4 v179, s[12:15], 0 offen lds            // 000000004A54: E05D1000 800300B3
	v_mfma_scale_f32_16x16x128_f8f6f4 a[20:23], v[120:123], v[12:15], a[20:23], v175, v168 op_sel_hi:[0,0,0] cbsz:4 blgp:4// 000000004A5C: D3AC7000 000351AF D3AD8C14 84521978
	v_mfma_scale_f32_16x16x128_f8f6f4 a[24:27], v[124:127], v[8:11], a[24:27], v175, v168 op_sel_hi:[0,0,0] cbsz:4 blgp:4// 000000004A6C: D3AC6800 000351AF D3AD8C18 8462117C
	s_add_u32 m0, 0x8400, s64                                  // 000000004A7C: 807C40FF 00008400
	buffer_load_dwordx4 v180, s[12:15], 0 offen lds            // 000000004A84: E05D1000 800300B4
	v_mfma_scale_f32_16x16x128_f8f6f4 a[28:31], v[124:127], v[12:15], a[28:31], v175, v168 op_sel_hi:[0,0,0] cbsz:4 blgp:4// 000000004A8C: D3AC7800 000351AF D3AD8C1C 8472197C
	s_add_u32 s62, 0x300, s60                                  // 000000004A9C: 803E3CFF 00000300
	s_cmp_lt_u32 s62, s61                                      // 000000004AA4: BF0A3D3E
	v_mfma_scale_f32_16x16x128_f8f6f4 a[16:19], v[128:131], v[16:19], a[16:19], v175, v168 op_sel_hi:[0,0,0] cbsz:4 blgp:4// 000000004AA8: D3AC6000 180351AF D3AD8C10 84422180
	s_cselect_b32 s66, s66, 0                                  // 000000004AB8: 85428042
	buffer_load_dwordx4 v[104:107], v187, s[16:19], 0 offen    // 000000004ABC: E05C1000 800468BB
	v_mfma_scale_f32_16x16x128_f8f6f4 a[20:23], v[128:131], v[20:23], a[20:23], v175, v168 op_sel_hi:[0,0,0] cbsz:4 blgp:4// 000000004AC4: D3AC7000 180351AF D3AD8C14 84522980
	s_cselect_b32 s68, s68, 0                                  // 000000004AD4: 85448044
	s_add_u32 s12, s12, s66                                    // 000000004AD8: 800C420C
	v_mfma_scale_f32_16x16x128_f8f6f4 a[24:27], v[132:135], v[16:19], a[24:27], v175, v168 op_sel_hi:[0,0,0] cbsz:4 blgp:4// 000000004ADC: D3AC6800 180351AF D3AD8C18 84622184
	s_addc_u32 s13, 0, s13                                     // 000000004AEC: 820D0D80
	buffer_load_dwordx4 v[108:111], v188, s[16:19], 0 offen    // 000000004AF0: E05C1000 80046CBC
	v_mfma_scale_f32_16x16x128_f8f6f4 a[28:31], v[132:135], v[20:23], a[28:31], v175, v168 op_sel_hi:[0,0,0] cbsz:4 blgp:4// 000000004AF8: D3AC7800 180351AF D3AD8C1C 84722984
	s_sub_u32 s14, s14, s66                                    // 000000004B08: 808E420E
	s_add_u32 s20, s20, s68                                    // 000000004B0C: 80144414
	s_waitcnt vmcnt(17)                                        // 000000004B10: BF8C4F71
	s_barrier                                                  // 000000004B14: BF8A0000
	v_mfma_scale_f32_16x16x128_f8f6f4 a[48:51], v[120:123], v[24:27], a[48:51], v175, v169 op_sel_hi:[0,0,0] cbsz:4 blgp:4// 000000004B18: D3AC6000 000353AF D3AD8C30 84C23178
	s_addc_u32 s21, 0, s21                                     // 000000004B28: 82151580
	buffer_load_dwordx4 v[112:115], v187, s[16:19], 0 offen offset:1024// 000000004B2C: E05C1400 800470BB
	v_mfma_scale_f32_16x16x128_f8f6f4 a[52:55], v[120:123], v[28:31], a[52:55], v175, v169 op_sel_hi:[0,0,0] cbsz:4 blgp:4// 000000004B34: D3AC7000 000353AF D3AD8C34 84D23978
	s_sub_u32 s22, s22, s68                                    // 000000004B44: 80964416
	ds_read_b128 v[56:59], v182                                // 000000004B48: D9FE0000 380000B6
	v_mfma_scale_f32_16x16x128_f8f6f4 a[56:59], v[124:127], v[24:27], a[56:59], v175, v169 op_sel_hi:[0,0,0] cbsz:4 blgp:4// 000000004B50: D3AC6800 000353AF D3AD8C38 84E2317C
	s_addk_i32 s60, 0x100                                      // 000000004B60: B73C0100
	buffer_load_dwordx4 v[116:119], v188, s[16:19], 0 offen offset:1024// 000000004B64: E05C1400 800474BC
	v_mfma_scale_f32_16x16x128_f8f6f4 a[60:63], v[124:127], v[28:31], a[60:63], v175, v169 op_sel_hi:[0,0,0] cbsz:4 blgp:4// 000000004B6C: D3AC7800 000353AF D3AD8C3C 84F2397C
	s_cmp_lt_i32 s60, s61                                      // 000000004B7C: BF043D3C
	ds_read_b128 v[64:67], v182 offset:64                      // 000000004B80: D9FE0040 400000B6
	v_mfma_scale_f32_16x16x128_f8f6f4 a[48:51], v[128:131], v[32:35], a[48:51], v175, v169 op_sel_hi:[0,0,0] cbsz:4 blgp:4// 000000004B88: D3AC6000 180353AF D3AD8C30 84C24180
	buffer_load_dword v174, v191, s[24:27], 0 offen            // 000000004B98: E0501000 8006AEBF
	v_mfma_scale_f32_16x16x128_f8f6f4 a[52:55], v[128:131], v[36:39], a[52:55], v175, v169 op_sel_hi:[0,0,0] cbsz:4 blgp:4// 000000004BA0: D3AC7000 180353AF D3AD8C34 84D24980
	ds_read_b128 v[60:63], v182 offset:512                     // 000000004BB0: D9FE0200 3C0000B6
	v_mfma_scale_f32_16x16x128_f8f6f4 a[56:59], v[132:135], v[32:35], a[56:59], v175, v169 op_sel_hi:[0,0,0] cbsz:4 blgp:4// 000000004BB8: D3AC6800 180353AF D3AD8C38 84E24184
	v_mfma_scale_f32_16x16x128_f8f6f4 a[60:63], v[132:135], v[36:39], a[60:63], v175, v169 op_sel_hi:[0,0,0] cbsz:4 blgp:4// 000000004BC8: D3AC7800 180353AF D3AD8C3C 84F24984
	ds_read_b128 v[68:71], v182 offset:576                     // 000000004BD8: D9FE0240 440000B6
	ds_read_b32 v171, v186 offset:1024                         // 000000004BE0: D86C0400 AB0000BA
	v_mfma_scale_f32_16x16x128_f8f6f4 a[80:83], v[120:123], v[40:43], a[80:83], v175, v170 op_sel_hi:[0,0,0] cbsz:4 blgp:4// 000000004BE8: D3AC6000 000355AF D3AD8C50 85425178
	v_mfma_scale_f32_16x16x128_f8f6f4 a[84:87], v[120:123], v[44:47], a[84:87], v175, v170 op_sel_hi:[0,0,0] cbsz:4 blgp:4// 000000004BF8: D3AC7000 000355AF D3AD8C54 85525978
	ds_read_b128 v[72:75], v182 offset:4224                    // 000000004C08: D9FE1080 480000B6
	v_mfma_scale_f32_16x16x128_f8f6f4 a[88:91], v[124:127], v[40:43], a[88:91], v175, v170 op_sel_hi:[0,0,0] cbsz:4 blgp:4// 000000004C10: D3AC4800 000355AF D3AD8C58 8562517C
	v_mfma_scale_f32_16x16x128_f8f6f4 a[92:95], v[124:127], v[44:47], a[92:95], v175, v170 op_sel_hi:[0,0,0] cbsz:4 blgp:4// 000000004C20: D3AC7800 000355AF D3AD8C5C 8572597C
	ds_read_b128 v[80:83], v182 offset:4288                    // 000000004C30: D9FE10C0 500000B6
	v_mfma_scale_f32_16x16x128_f8f6f4 a[80:83], v[128:131], v[48:51], a[80:83], v175, v170 op_sel_hi:[0,0,0] cbsz:4 blgp:4// 000000004C38: D3AC6000 180355AF D3AD8C50 85426180
	v_mfma_scale_f32_16x16x128_f8f6f4 a[84:87], v[128:131], v[52:55], a[84:87], v175, v170 op_sel_hi:[0,0,0] cbsz:4 blgp:4// 000000004C48: D3AC7000 180355AF D3AD8C54 85526980
	ds_read_b128 v[76:79], v182 offset:4736                    // 000000004C58: D9FE1280 4C0000B6
	v_mfma_scale_f32_16x16x128_f8f6f4 a[88:91], v[132:135], v[48:51], a[88:91], v175, v170 op_sel_hi:[0,0,0] cbsz:4 blgp:4// 000000004C60: D3AC6800 180355AF D3AD8C58 85626184
	v_mfma_scale_f32_16x16x128_f8f6f4 a[92:95], v[132:135], v[52:55], a[92:95], v175, v170 op_sel_hi:[0,0,0] cbsz:4 blgp:4// 000000004C70: D3AC7800 180355AF D3AD8C5C 85726984
	ds_read_b128 v[84:87], v182 offset:4800                    // 000000004C80: D9FE12C0 540000B6
	ds_read_b32 v172, v186 offset:1280                         // 000000004C88: D86C0500 AC0000BA
	s_cbranch_scc0 label_0B8A                                  // 000000004C90: BF840365
	s_waitcnt vmcnt(14) lgkmcnt(5)                             // 000000004C94: BF8C057E
	s_barrier                                                  // 000000004C98: BF8A0000
	v_mfma_scale_f32_16x16x128_f8f6f4 a[0:3], v[136:139], v[56:59], a[0:3], v176, v171 op_sel_hi:[0,0,0] cbsz:4 blgp:4// 000000004C9C: D3AC6000 000357B0 D3AD8C00 84027188
	s_add_u32 s63, 0x200, s60                                  // 000000004CAC: 803F3CFF 00000200
	buffer_load_dwordx4 v[120:123], v189, s[16:19], 0 offen    // 000000004CB4: E05C1000 800478BD
	v_mfma_scale_f32_16x16x128_f8f6f4 a[4:7], v[136:139], v[60:63], a[4:7], v176, v171 op_sel_hi:[0,0,0] cbsz:4 blgp:4// 000000004CBC: D3AC7000 000357B0 D3AD8C04 84127988
	s_cmp_lt_u32 s63, s61                                      // 000000004CCC: BF0A3D3F
	ds_read_b128 v[88:91], v182 offset:8448                    // 000000004CD0: D9FE2100 580000B6
	v_mfma_scale_f32_16x16x128_f8f6f4 a[8:11], v[140:143], v[56:59], a[8:11], v176, v171 op_sel_hi:[0,0,0] cbsz:4 blgp:4// 000000004CD8: D3AC6800 000357B0 D3AD8C08 8422718C
	s_cselect_b32 s67, s67, 0                                  // 000000004CE8: 85438043
	buffer_load_dwordx4 v[124:127], v190, s[16:19], 0 offen    // 000000004CEC: E05C1000 80047CBE
	v_mfma_scale_f32_16x16x128_f8f6f4 a[12:15], v[140:143], v[60:63], a[12:15], v176, v171 op_sel_hi:[0,0,0] cbsz:4 blgp:4// 000000004CF4: D3AC7800 000357B0 D3AD8C0C 8432798C
	s_cselect_b32 s69, s69, 0                                  // 000000004D04: 85458045
	ds_read_b128 v[96:99], v182 offset:8512                    // 000000004D08: D9FE2140 600000B6
	v_mfma_scale_f32_16x16x128_f8f6f4 a[0:3], v[144:147], v[64:67], a[0:3], v176, v171 op_sel_hi:[0,0,0] cbsz:4 blgp:4// 000000004D10: D3AC6000 180357B0 D3AD8C00 84028190
	buffer_load_dwordx4 v[128:131], v189, s[16:19], 0 offen offset:1024// 000000004D20: E05C1400 800480BD
	v_mfma_scale_f32_16x16x128_f8f6f4 a[4:7], v[144:147], v[68:71], a[4:7], v176, v171 op_sel_hi:[0,0,0] cbsz:4 blgp:4// 000000004D28: D3AC7000 180357B0 D3AD8C04 84128990
	ds_read_b128 v[92:95], v182 offset:8960                    // 000000004D38: D9FE2300 5C0000B6
	v_mfma_scale_f32_16x16x128_f8f6f4 a[8:11], v[148:151], v[64:67], a[8:11], v176, v171 op_sel_hi:[0,0,0] cbsz:4 blgp:4// 000000004D40: D3AC6800 180357B0 D3AD8C08 84228194
	buffer_load_dwordx4 v[132:135], v190, s[16:19], 0 offen offset:1024// 000000004D50: E05C1400 800484BE
	v_mfma_scale_f32_16x16x128_f8f6f4 a[12:15], v[148:151], v[68:71], a[12:15], v176, v171 op_sel_hi:[0,0,0] cbsz:4 blgp:4// 000000004D58: D3AC7800 180357B0 D3AD8C0C 84328994
	ds_read_b128 v[100:103], v182 offset:9024                  // 000000004D68: D9FE2340 640000B6
	ds_read_b32 v173, v186 offset:1536                         // 000000004D70: D86C0600 AD0000BA
	s_waitcnt lgkmcnt(5)                                       // 000000004D78: BF8CC57F
	v_mfma_scale_f32_16x16x128_f8f6f4 a[32:35], v[136:139], v[72:75], a[32:35], v176, v172 op_sel_hi:[0,0,0] cbsz:4 blgp:4// 000000004D7C: D3AC6000 000359B0 D3AD8C20 84829188
	buffer_load_dword v175, v192, s[24:27], 0 offen            // 000000004D8C: E0501000 8006AFC0
	v_mfma_scale_f32_16x16x128_f8f6f4 a[36:39], v[136:139], v[76:79], a[36:39], v176, v172 op_sel_hi:[0,0,0] cbsz:4 blgp:4// 000000004D94: D3AC7000 000359B0 D3AD8C24 84929988
	s_add_u32 s16, s16, s67                                    // 000000004DA4: 80104310
	s_addc_u32 s17, 0, s17                                     // 000000004DA8: 82111180
	v_mfma_scale_f32_16x16x128_f8f6f4 a[40:43], v[140:143], v[72:75], a[40:43], v176, v172 op_sel_hi:[0,0,0] cbsz:4 blgp:4// 000000004DAC: D3AC6800 000359B0 D3AD8C28 84A2918C
	s_sub_u32 s18, s18, s67                                    // 000000004DBC: 80924312
	s_add_u32 s24, s24, s69                                    // 000000004DC0: 80184518
	v_mfma_scale_f32_16x16x128_f8f6f4 a[44:47], v[140:143], v[76:79], a[44:47], v176, v172 op_sel_hi:[0,0,0] cbsz:4 blgp:4// 000000004DC4: D3AC7800 000359B0 D3AD8C2C 84B2998C
	s_addc_u32 s25, 0, s25                                     // 000000004DD4: 82191980
	s_sub_u32 s26, s26, s69                                    // 000000004DD8: 809A451A
	v_mfma_scale_f32_16x16x128_f8f6f4 a[32:35], v[144:147], v[80:83], a[32:35], v176, v172 op_sel_hi:[0,0,0] cbsz:4 blgp:4// 000000004DDC: D3AC6000 180359B0 D3AD8C20 8482A190
	s_add_u32 m0, 0xc00, s65                                   // 000000004DEC: 807C41FF 00000C00
	buffer_load_dword v185, s[20:23], 0 offen lds              // 000000004DF4: E0511000 800500B9
	v_mfma_scale_f32_16x16x128_f8f6f4 a[36:39], v[144:147], v[84:87], a[36:39], v176, v172 op_sel_hi:[0,0,0] cbsz:4 blgp:4// 000000004DFC: D3AC7000 180359B0 D3AD8C24 8492A990
	v_mfma_scale_f32_16x16x128_f8f6f4 a[40:43], v[148:151], v[80:83], a[40:43], v176, v172 op_sel_hi:[0,0,0] cbsz:4 blgp:4// 000000004E0C: D3AC6800 180359B0 D3AD8C28 84A2A194
	s_add_u32 m0, 0x9480, s64                                  // 000000004E1C: 807C40FF 00009480
	buffer_load_dwordx4 v178, s[12:15], 0 offen lds            // 000000004E24: E05D1000 800300B2
	v_mfma_scale_f32_16x16x128_f8f6f4 a[44:47], v[148:151], v[84:87], a[44:47], v176, v172 op_sel_hi:[0,0,0] cbsz:4 blgp:4// 000000004E2C: D3AC7800 180359B0 D3AD8C2C 84B2A994
	s_waitcnt lgkmcnt(0)                                       // 000000004E3C: BF8CC07F
	v_mfma_scale_f32_16x16x128_f8f6f4 a[64:67], v[136:139], v[88:91], a[64:67], v176, v173 op_sel_hi:[0,0,0] cbsz:4 blgp:4// 000000004E40: D3AC6000 00035BB0 D3AD8C40 8502B188
	v_mfma_scale_f32_16x16x128_f8f6f4 a[68:71], v[136:139], v[92:95], a[68:71], v176, v173 op_sel_hi:[0,0,0] cbsz:4 blgp:4// 000000004E50: D3AC7000 00035BB0 D3AD8C44 8512B988
	v_mfma_scale_f32_16x16x128_f8f6f4 a[72:75], v[140:143], v[88:91], a[72:75], v176, v173 op_sel_hi:[0,0,0] cbsz:4 blgp:4// 000000004E60: D3AC6800 00035BB0 D3AD8C48 8522B18C
	v_mfma_scale_f32_16x16x128_f8f6f4 a[76:79], v[140:143], v[92:95], a[76:79], v176, v173 op_sel_hi:[0,0,0] cbsz:4 blgp:4// 000000004E70: D3AC7800 00035BB0 D3AD8C4C 8532B98C
	v_mfma_scale_f32_16x16x128_f8f6f4 a[64:67], v[144:147], v[96:99], a[64:67], v176, v173 op_sel_hi:[0,0,0] cbsz:4 blgp:4// 000000004E80: D3AC6000 18035BB0 D3AD8C40 8502C190
	v_mfma_scale_f32_16x16x128_f8f6f4 a[68:71], v[144:147], v[100:103], a[68:71], v176, v173 op_sel_hi:[0,0,0] cbsz:4 blgp:4// 000000004E90: D3AC7000 18035BB0 D3AD8C44 8512C990
	v_mfma_scale_f32_16x16x128_f8f6f4 a[72:75], v[148:151], v[96:99], a[72:75], v176, v173 op_sel_hi:[0,0,0] cbsz:4 blgp:4// 000000004EA0: D3AC6800 18035BB0 D3AD8C48 8522C194
	v_mfma_scale_f32_16x16x128_f8f6f4 a[76:79], v[148:151], v[100:103], a[76:79], v176, v173 op_sel_hi:[0,0,0] cbsz:4 blgp:4// 000000004EB0: D3AC7800 18035BB0 D3AD8C4C 8532C994
	s_waitcnt vmcnt(16)                                        // 000000004EC0: BF8C4F70
	v_mfma_scale_f32_16x16x128_f8f6f4 a[16:19], v[152:155], v[56:59], a[16:19], v177, v171 op_sel_hi:[0,0,0] cbsz:4 blgp:4// 000000004EC4: D3AC6000 000357B1 D3AD8C10 84427198
	s_add_u32 m0, 0xa500, s64                                  // 000000004ED4: 807C40FF 0000A500
	buffer_load_dwordx4 v179, s[12:15], 0 offen lds            // 000000004EDC: E05D1000 800300B3
	v_mfma_scale_f32_16x16x128_f8f6f4 a[20:23], v[152:155], v[60:63], a[20:23], v177, v171 op_sel_hi:[0,0,0] cbsz:4 blgp:4// 000000004EE4: D3AC7000 000357B1 D3AD8C14 84527998
	v_mfma_scale_f32_16x16x128_f8f6f4 a[24:27], v[156:159], v[56:59], a[24:27], v177, v171 op_sel_hi:[0,0,0] cbsz:4 blgp:4// 000000004EF4: D3AC6800 000357B1 D3AD8C18 8462719C
	s_add_u32 m0, 0xb580, s64                                  // 000000004F04: 807C40FF 0000B580
	buffer_load_dwordx4 v180, s[12:15], 0 offen lds            // 000000004F0C: E05D1000 800300B4
	v_mfma_scale_f32_16x16x128_f8f6f4 a[28:31], v[156:159], v[60:63], a[28:31], v177, v171 op_sel_hi:[0,0,0] cbsz:4 blgp:4// 000000004F14: D3AC7800 000357B1 D3AD8C1C 8472799C
	s_add_u32 s62, 0x300, s60                                  // 000000004F24: 803E3CFF 00000300
	s_cmp_lt_u32 s62, s61                                      // 000000004F2C: BF0A3D3E
	v_mfma_scale_f32_16x16x128_f8f6f4 a[16:19], v[160:163], v[64:67], a[16:19], v177, v171 op_sel_hi:[0,0,0] cbsz:4 blgp:4// 000000004F30: D3AC6000 180357B1 D3AD8C10 844281A0
	s_cselect_b32 s66, s66, 0                                  // 000000004F40: 85428042
	buffer_load_dwordx4 v[136:139], v187, s[16:19], 0 offen    // 000000004F44: E05C1000 800488BB
	v_mfma_scale_f32_16x16x128_f8f6f4 a[20:23], v[160:163], v[68:71], a[20:23], v177, v171 op_sel_hi:[0,0,0] cbsz:4 blgp:4// 000000004F4C: D3AC7000 180357B1 D3AD8C14 845289A0
	s_cselect_b32 s68, s68, 0                                  // 000000004F5C: 85448044
	s_add_u32 s12, s12, s66                                    // 000000004F60: 800C420C
	v_mfma_scale_f32_16x16x128_f8f6f4 a[24:27], v[164:167], v[64:67], a[24:27], v177, v171 op_sel_hi:[0,0,0] cbsz:4 blgp:4// 000000004F64: D3AC6800 180357B1 D3AD8C18 846281A4
	s_addc_u32 s13, 0, s13                                     // 000000004F74: 820D0D80
	buffer_load_dwordx4 v[140:143], v188, s[16:19], 0 offen    // 000000004F78: E05C1000 80048CBC
	v_mfma_scale_f32_16x16x128_f8f6f4 a[28:31], v[164:167], v[68:71], a[28:31], v177, v171 op_sel_hi:[0,0,0] cbsz:4 blgp:4// 000000004F80: D3AC7800 180357B1 D3AD8C1C 847289A4
	s_sub_u32 s14, s14, s66                                    // 000000004F90: 808E420E
	s_add_u32 s20, s20, s68                                    // 000000004F94: 80144414
	s_waitcnt vmcnt(17)                                        // 000000004F98: BF8C4F71
	s_barrier                                                  // 000000004F9C: BF8A0000
	v_mfma_scale_f32_16x16x128_f8f6f4 a[48:51], v[152:155], v[72:75], a[48:51], v177, v172 op_sel_hi:[0,0,0] cbsz:4 blgp:4// 000000004FA0: D3AC6000 000359B1 D3AD8C30 84C29198
	s_addc_u32 s21, 0, s21                                     // 000000004FB0: 82151580
	buffer_load_dwordx4 v[144:147], v187, s[16:19], 0 offen offset:1024// 000000004FB4: E05C1400 800490BB
	v_mfma_scale_f32_16x16x128_f8f6f4 a[52:55], v[152:155], v[76:79], a[52:55], v177, v172 op_sel_hi:[0,0,0] cbsz:4 blgp:4// 000000004FBC: D3AC7000 000359B1 D3AD8C34 84D29998
	s_sub_u32 s22, s22, s68                                    // 000000004FCC: 80964416
	ds_read_b128 v[8:11], v183                                 // 000000004FD0: D9FE0000 080000B7
	v_mfma_scale_f32_16x16x128_f8f6f4 a[56:59], v[156:159], v[72:75], a[56:59], v177, v172 op_sel_hi:[0,0,0] cbsz:4 blgp:4// 000000004FD8: D3AC6800 000359B1 D3AD8C38 84E2919C
	s_addk_i32 s60, 0x100                                      // 000000004FE8: B73C0100
	buffer_load_dwordx4 v[148:151], v188, s[16:19], 0 offen offset:1024// 000000004FEC: E05C1400 800494BC
	v_mfma_scale_f32_16x16x128_f8f6f4 a[60:63], v[156:159], v[76:79], a[60:63], v177, v172 op_sel_hi:[0,0,0] cbsz:4 blgp:4// 000000004FF4: D3AC7800 000359B1 D3AD8C3C 84F2999C
	s_cmp_lt_i32 s60, s61                                      // 000000005004: BF043D3C
	ds_read_b128 v[16:19], v183 offset:64                      // 000000005008: D9FE0040 100000B7
	v_mfma_scale_f32_16x16x128_f8f6f4 a[48:51], v[160:163], v[80:83], a[48:51], v177, v172 op_sel_hi:[0,0,0] cbsz:4 blgp:4// 000000005010: D3AC6000 180359B1 D3AD8C30 84C2A1A0
	buffer_load_dword v176, v191, s[24:27], 0 offen            // 000000005020: E0501000 8006B0BF
	v_mfma_scale_f32_16x16x128_f8f6f4 a[52:55], v[160:163], v[84:87], a[52:55], v177, v172 op_sel_hi:[0,0,0] cbsz:4 blgp:4// 000000005028: D3AC7000 180359B1 D3AD8C34 84D2A9A0
	ds_read_b128 v[12:15], v183 offset:512                     // 000000005038: D9FE0200 0C0000B7
	v_mfma_scale_f32_16x16x128_f8f6f4 a[56:59], v[164:167], v[80:83], a[56:59], v177, v172 op_sel_hi:[0,0,0] cbsz:4 blgp:4// 000000005040: D3AC6800 180359B1 D3AD8C38 84E2A1A4
	v_mfma_scale_f32_16x16x128_f8f6f4 a[60:63], v[164:167], v[84:87], a[60:63], v177, v172 op_sel_hi:[0,0,0] cbsz:4 blgp:4// 000000005050: D3AC7800 180359B1 D3AD8C3C 84F2A9A4
	ds_read_b128 v[20:23], v183 offset:576                     // 000000005060: D9FE0240 140000B7
	ds_read_b32 v168, v186 offset:2048                         // 000000005068: D86C0800 A80000BA
	v_mfma_scale_f32_16x16x128_f8f6f4 a[80:83], v[152:155], v[88:91], a[80:83], v177, v173 op_sel_hi:[0,0,0] cbsz:4 blgp:4// 000000005070: D3AC6000 00035BB1 D3AD8C50 8542B198
	v_mfma_scale_f32_16x16x128_f8f6f4 a[84:87], v[152:155], v[92:95], a[84:87], v177, v173 op_sel_hi:[0,0,0] cbsz:4 blgp:4// 000000005080: D3AC7000 00035BB1 D3AD8C54 8552B998
	ds_read_b128 v[24:27], v183 offset:4224                    // 000000005090: D9FE1080 180000B7
	v_mfma_scale_f32_16x16x128_f8f6f4 a[88:91], v[156:159], v[88:91], a[88:91], v177, v173 op_sel_hi:[0,0,0] cbsz:4 blgp:4// 000000005098: D3AC6800 00035BB1 D3AD8C58 8562B19C
	v_mfma_scale_f32_16x16x128_f8f6f4 a[92:95], v[156:159], v[92:95], a[92:95], v177, v173 op_sel_hi:[0,0,0] cbsz:4 blgp:4// 0000000050A8: D3AC7800 00035BB1 D3AD8C5C 8572B99C
	ds_read_b128 v[32:35], v183 offset:4288                    // 0000000050B8: D9FE10C0 200000B7
	v_mfma_scale_f32_16x16x128_f8f6f4 a[80:83], v[160:163], v[96:99], a[80:83], v177, v173 op_sel_hi:[0,0,0] cbsz:4 blgp:4// 0000000050C0: D3AC6000 18035BB1 D3AD8C50 8542C1A0
	v_mfma_scale_f32_16x16x128_f8f6f4 a[84:87], v[160:163], v[100:103], a[84:87], v177, v173 op_sel_hi:[0,0,0] cbsz:4 blgp:4// 0000000050D0: D3AC7000 18035BB1 D3AD8C54 8552C9A0
	ds_read_b128 v[28:31], v183 offset:4736                    // 0000000050E0: D9FE1280 1C0000B7
	v_mfma_scale_f32_16x16x128_f8f6f4 a[88:91], v[164:167], v[96:99], a[88:91], v177, v173 op_sel_hi:[0,0,0] cbsz:4 blgp:4// 0000000050E8: D3AC6800 18035BB1 D3AD8C58 8562C1A4
	v_mfma_scale_f32_16x16x128_f8f6f4 a[92:95], v[164:167], v[100:103], a[92:95], v177, v173 op_sel_hi:[0,0,0] cbsz:4 blgp:4// 0000000050F8: D3AC7800 18035BB1 D3AD8C5C 8572C9A4
	ds_read_b128 v[36:39], v183 offset:4800                    // 000000005108: D9FE12C0 240000B7
	ds_read_b32 v169, v186 offset:2304                         // 000000005110: D86C0900 A90000BA
	s_cbranch_scc0 label_0B8A                                  // 000000005118: BF840243
	s_waitcnt vmcnt(14) lgkmcnt(5)                             // 00000000511C: BF8C057E
	s_barrier                                                  // 000000005120: BF8A0000
	v_mfma_scale_f32_16x16x128_f8f6f4 a[0:3], v[104:107], v[8:11], a[0:3], v174, v168 op_sel_hi:[0,0,0] cbsz:4 blgp:4// 000000005124: D3AC6000 000351AE D3AD8C00 84021168
	s_add_u32 s63, 0x200, s60                                  // 000000005134: 803F3CFF 00000200
	buffer_load_dwordx4 v[152:155], v189, s[16:19], 0 offen    // 00000000513C: E05C1000 800498BD
	v_mfma_scale_f32_16x16x128_f8f6f4 a[4:7], v[104:107], v[12:15], a[4:7], v174, v168 op_sel_hi:[0,0,0] cbsz:4 blgp:4// 000000005144: D3AC7000 000351AE D3AD8C04 84121968
	s_cmp_lt_u32 s63, s61                                      // 000000005154: BF0A3D3F
	ds_read_b128 v[40:43], v183 offset:8448                    // 000000005158: D9FE2100 280000B7
	v_mfma_scale_f32_16x16x128_f8f6f4 a[8:11], v[108:111], v[8:11], a[8:11], v174, v168 op_sel_hi:[0,0,0] cbsz:4 blgp:4// 000000005160: D3AC6800 000351AE D3AD8C08 8422116C
	s_cselect_b32 s67, s67, 0                                  // 000000005170: 85438043
	buffer_load_dwordx4 v[156:159], v190, s[16:19], 0 offen    // 000000005174: E05C1000 80049CBE
	v_mfma_scale_f32_16x16x128_f8f6f4 a[12:15], v[108:111], v[12:15], a[12:15], v174, v168 op_sel_hi:[0,0,0] cbsz:4 blgp:4// 00000000517C: D3AC7800 000351AE D3AD8C0C 8432196C
	s_cselect_b32 s69, s69, 0                                  // 00000000518C: 85458045
	ds_read_b128 v[48:51], v183 offset:8512                    // 000000005190: D9FE2140 300000B7
	v_mfma_scale_f32_16x16x128_f8f6f4 a[0:3], v[112:115], v[16:19], a[0:3], v174, v168 op_sel_hi:[0,0,0] cbsz:4 blgp:4// 000000005198: D3AC6000 180351AE D3AD8C00 84022170
	buffer_load_dwordx4 v[160:163], v189, s[16:19], 0 offen offset:1024// 0000000051A8: E05C1400 8004A0BD
	v_mfma_scale_f32_16x16x128_f8f6f4 a[4:7], v[112:115], v[20:23], a[4:7], v174, v168 op_sel_hi:[0,0,0] cbsz:4 blgp:4// 0000000051B0: D3AC7000 180351AE D3AD8C04 84122970
	ds_read_b128 v[44:47], v183 offset:8960                    // 0000000051C0: D9FE2300 2C0000B7
	v_mfma_scale_f32_16x16x128_f8f6f4 a[8:11], v[116:119], v[16:19], a[8:11], v174, v168 op_sel_hi:[0,0,0] cbsz:4 blgp:4// 0000000051C8: D3AC6800 180351AE D3AD8C08 84222174
	buffer_load_dwordx4 v[164:167], v190, s[16:19], 0 offen offset:1024// 0000000051D8: E05C1400 8004A4BE
	v_mfma_scale_f32_16x16x128_f8f6f4 a[12:15], v[116:119], v[20:23], a[12:15], v174, v168 op_sel_hi:[0,0,0] cbsz:4 blgp:4// 0000000051E0: D3AC7800 180351AE D3AD8C0C 84322974
	ds_read_b128 v[52:55], v183 offset:9024                    // 0000000051F0: D9FE2340 340000B7
	ds_read_b32 v170, v186 offset:2560                         // 0000000051F8: D86C0A00 AA0000BA
	s_waitcnt lgkmcnt(5)                                       // 000000005200: BF8CC57F
	v_mfma_scale_f32_16x16x128_f8f6f4 a[32:35], v[104:107], v[24:27], a[32:35], v174, v169 op_sel_hi:[0,0,0] cbsz:4 blgp:4// 000000005204: D3AC6000 000353AE D3AD8C20 84823168
	buffer_load_dword v177, v192, s[24:27], 0 offen            // 000000005214: E0501000 8006B1C0
	v_mfma_scale_f32_16x16x128_f8f6f4 a[36:39], v[104:107], v[28:31], a[36:39], v174, v169 op_sel_hi:[0,0,0] cbsz:4 blgp:4// 00000000521C: D3AC7000 000353AE D3AD8C24 84923968
	s_add_u32 s16, s16, s67                                    // 00000000522C: 80104310
	s_addc_u32 s17, 0, s17                                     // 000000005230: 82111180
	v_mfma_scale_f32_16x16x128_f8f6f4 a[40:43], v[108:111], v[24:27], a[40:43], v174, v169 op_sel_hi:[0,0,0] cbsz:4 blgp:4// 000000005234: D3AC6800 000353AE D3AD8C28 84A2316C
	s_sub_u32 s18, s18, s67                                    // 000000005244: 80924312
	s_add_u32 s24, s24, s69                                    // 000000005248: 80184518
	v_mfma_scale_f32_16x16x128_f8f6f4 a[44:47], v[108:111], v[28:31], a[44:47], v174, v169 op_sel_hi:[0,0,0] cbsz:4 blgp:4// 00000000524C: D3AC7800 000353AE D3AD8C2C 84B2396C
	s_addc_u32 s25, 0, s25                                     // 00000000525C: 82191980
	s_sub_u32 s26, s26, s69                                    // 000000005260: 809A451A
	v_mfma_scale_f32_16x16x128_f8f6f4 a[32:35], v[112:115], v[32:35], a[32:35], v174, v169 op_sel_hi:[0,0,0] cbsz:4 blgp:4// 000000005264: D3AC6000 180353AE D3AD8C20 84824170
	s_add_u32 m0, 0, s65                                       // 000000005274: 807C4180
	buffer_load_dword v185, s[20:23], 0 offen lds              // 000000005278: E0511000 800500B9
	v_mfma_scale_f32_16x16x128_f8f6f4 a[36:39], v[112:115], v[36:39], a[36:39], v174, v169 op_sel_hi:[0,0,0] cbsz:4 blgp:4// 000000005280: D3AC7000 180353AE D3AD8C24 84924970
	v_mfma_scale_f32_16x16x128_f8f6f4 a[40:43], v[116:119], v[32:35], a[40:43], v174, v169 op_sel_hi:[0,0,0] cbsz:4 blgp:4// 000000005290: D3AC6800 180353AE D3AD8C28 84A24174
	s_add_u32 m0, 0, s64                                       // 0000000052A0: 807C4080
	buffer_load_dwordx4 v178, s[12:15], 0 offen lds            // 0000000052A4: E05D1000 800300B2
	v_mfma_scale_f32_16x16x128_f8f6f4 a[44:47], v[116:119], v[36:39], a[44:47], v174, v169 op_sel_hi:[0,0,0] cbsz:4 blgp:4// 0000000052AC: D3AC7800 180353AE D3AD8C2C 84B24974
	s_waitcnt lgkmcnt(0)                                       // 0000000052BC: BF8CC07F
	v_mfma_scale_f32_16x16x128_f8f6f4 a[64:67], v[104:107], v[40:43], a[64:67], v174, v170 op_sel_hi:[0,0,0] cbsz:4 blgp:4// 0000000052C0: D3AC6000 000355AE D3AD8C40 85025168
	v_mfma_scale_f32_16x16x128_f8f6f4 a[68:71], v[104:107], v[44:47], a[68:71], v174, v170 op_sel_hi:[0,0,0] cbsz:4 blgp:4// 0000000052D0: D3AC7000 000355AE D3AD8C44 85125968
	v_mfma_scale_f32_16x16x128_f8f6f4 a[72:75], v[108:111], v[40:43], a[72:75], v174, v170 op_sel_hi:[0,0,0] cbsz:4 blgp:4// 0000000052E0: D3AC6800 000355AE D3AD8C48 8522516C
	v_mfma_scale_f32_16x16x128_f8f6f4 a[76:79], v[108:111], v[44:47], a[76:79], v174, v170 op_sel_hi:[0,0,0] cbsz:4 blgp:4// 0000000052F0: D3AC7800 000355AE D3AD8C4C 8532596C
	v_mfma_scale_f32_16x16x128_f8f6f4 a[64:67], v[112:115], v[48:51], a[64:67], v174, v170 op_sel_hi:[0,0,0] cbsz:4 blgp:4// 000000005300: D3AC6000 180355AE D3AD8C40 85026170
	v_mfma_scale_f32_16x16x128_f8f6f4 a[68:71], v[112:115], v[52:55], a[68:71], v174, v170 op_sel_hi:[0,0,0] cbsz:4 blgp:4// 000000005310: D3AC7000 180355AE D3AD8C44 85126970
	v_mfma_scale_f32_16x16x128_f8f6f4 a[72:75], v[116:119], v[48:51], a[72:75], v174, v170 op_sel_hi:[0,0,0] cbsz:4 blgp:4// 000000005320: D3AC6800 180355AE D3AD8C48 85226174
	v_mfma_scale_f32_16x16x128_f8f6f4 a[76:79], v[116:119], v[52:55], a[76:79], v174, v170 op_sel_hi:[0,0,0] cbsz:4 blgp:4// 000000005330: D3AC7800 180355AE D3AD8C4C 85326974
	s_waitcnt vmcnt(16)                                        // 000000005340: BF8C4F70
	v_mfma_scale_f32_16x16x128_f8f6f4 a[16:19], v[120:123], v[8:11], a[16:19], v175, v168 op_sel_hi:[0,0,0] cbsz:4 blgp:4// 000000005344: D3AC6000 000351AF D3AD8C10 84421178
	s_add_u32 m0, 0x1080, s64                                  // 000000005354: 807C40FF 00001080
	buffer_load_dwordx4 v179, s[12:15], 0 offen lds            // 00000000535C: E05D1000 800300B3
	v_mfma_scale_f32_16x16x128_f8f6f4 a[20:23], v[120:123], v[12:15], a[20:23], v175, v168 op_sel_hi:[0,0,0] cbsz:4 blgp:4// 000000005364: D3AC7000 000351AF D3AD8C14 84521978
	v_mfma_scale_f32_16x16x128_f8f6f4 a[24:27], v[124:127], v[8:11], a[24:27], v175, v168 op_sel_hi:[0,0,0] cbsz:4 blgp:4// 000000005374: D3AC6800 000351AF D3AD8C18 8462117C
	s_add_u32 m0, 0x2100, s64                                  // 000000005384: 807C40FF 00002100
	buffer_load_dwordx4 v180, s[12:15], 0 offen lds            // 00000000538C: E05D1000 800300B4
	v_mfma_scale_f32_16x16x128_f8f6f4 a[28:31], v[124:127], v[12:15], a[28:31], v175, v168 op_sel_hi:[0,0,0] cbsz:4 blgp:4// 000000005394: D3AC7800 000351AF D3AD8C1C 8472197C
	s_add_u32 s62, 0x300, s60                                  // 0000000053A4: 803E3CFF 00000300
	s_cmp_lt_u32 s62, s61                                      // 0000000053AC: BF0A3D3E
	v_mfma_scale_f32_16x16x128_f8f6f4 a[16:19], v[128:131], v[16:19], a[16:19], v175, v168 op_sel_hi:[0,0,0] cbsz:4 blgp:4// 0000000053B0: D3AC6000 180351AF D3AD8C10 84422180
	s_cselect_b32 s66, s66, 0                                  // 0000000053C0: 85428042
	buffer_load_dwordx4 v[104:107], v187, s[16:19], 0 offen    // 0000000053C4: E05C1000 800468BB
	v_mfma_scale_f32_16x16x128_f8f6f4 a[20:23], v[128:131], v[20:23], a[20:23], v175, v168 op_sel_hi:[0,0,0] cbsz:4 blgp:4// 0000000053CC: D3AC7000 180351AF D3AD8C14 84522980
	s_cselect_b32 s68, s68, 0                                  // 0000000053DC: 85448044
	s_add_u32 s12, s12, s66                                    // 0000000053E0: 800C420C
	v_mfma_scale_f32_16x16x128_f8f6f4 a[24:27], v[132:135], v[16:19], a[24:27], v175, v168 op_sel_hi:[0,0,0] cbsz:4 blgp:4// 0000000053E4: D3AC6800 180351AF D3AD8C18 84622184
	s_addc_u32 s13, 0, s13                                     // 0000000053F4: 820D0D80
	buffer_load_dwordx4 v[108:111], v188, s[16:19], 0 offen    // 0000000053F8: E05C1000 80046CBC
	v_mfma_scale_f32_16x16x128_f8f6f4 a[28:31], v[132:135], v[20:23], a[28:31], v175, v168 op_sel_hi:[0,0,0] cbsz:4 blgp:4// 000000005400: D3AC7800 180351AF D3AD8C1C 84722984
	s_sub_u32 s14, s14, s66                                    // 000000005410: 808E420E
	s_add_u32 s20, s20, s68                                    // 000000005414: 80144414
	s_waitcnt vmcnt(17)                                        // 000000005418: BF8C4F71
	s_barrier                                                  // 00000000541C: BF8A0000
	v_mfma_scale_f32_16x16x128_f8f6f4 a[48:51], v[120:123], v[24:27], a[48:51], v175, v169 op_sel_hi:[0,0,0] cbsz:4 blgp:4// 000000005420: D3AC6000 000353AF D3AD8C30 84C23178
	s_addc_u32 s21, 0, s21                                     // 000000005430: 82151580
	buffer_load_dwordx4 v[112:115], v187, s[16:19], 0 offen offset:1024// 000000005434: E05C1400 800470BB
	v_mfma_scale_f32_16x16x128_f8f6f4 a[52:55], v[120:123], v[28:31], a[52:55], v175, v169 op_sel_hi:[0,0,0] cbsz:4 blgp:4// 00000000543C: D3AC7000 000353AF D3AD8C34 84D23978
	s_sub_u32 s22, s22, s68                                    // 00000000544C: 80964416
	ds_read_b128 v[56:59], v184                                // 000000005450: D9FE0000 380000B8
	v_mfma_scale_f32_16x16x128_f8f6f4 a[56:59], v[124:127], v[24:27], a[56:59], v175, v169 op_sel_hi:[0,0,0] cbsz:4 blgp:4// 000000005458: D3AC6800 000353AF D3AD8C38 84E2317C
	s_addk_i32 s60, 0x100                                      // 000000005468: B73C0100
	buffer_load_dwordx4 v[116:119], v188, s[16:19], 0 offen offset:1024// 00000000546C: E05C1400 800474BC
	v_mfma_scale_f32_16x16x128_f8f6f4 a[60:63], v[124:127], v[28:31], a[60:63], v175, v169 op_sel_hi:[0,0,0] cbsz:4 blgp:4// 000000005474: D3AC7800 000353AF D3AD8C3C 84F2397C
	s_cmp_lt_i32 s60, s61                                      // 000000005484: BF043D3C
	ds_read_b128 v[64:67], v184 offset:64                      // 000000005488: D9FE0040 400000B8
	v_mfma_scale_f32_16x16x128_f8f6f4 a[48:51], v[128:131], v[32:35], a[48:51], v175, v169 op_sel_hi:[0,0,0] cbsz:4 blgp:4// 000000005490: D3AC6000 180353AF D3AD8C30 84C24180
	buffer_load_dword v174, v191, s[24:27], 0 offen            // 0000000054A0: E0501000 8006AEBF
	v_mfma_scale_f32_16x16x128_f8f6f4 a[52:55], v[128:131], v[36:39], a[52:55], v175, v169 op_sel_hi:[0,0,0] cbsz:4 blgp:4// 0000000054A8: D3AC7000 180353AF D3AD8C34 84D24980
	ds_read_b128 v[60:63], v184 offset:512                     // 0000000054B8: D9FE0200 3C0000B8
	v_mfma_scale_f32_16x16x128_f8f6f4 a[56:59], v[132:135], v[32:35], a[56:59], v175, v169 op_sel_hi:[0,0,0] cbsz:4 blgp:4// 0000000054C0: D3AC6800 180353AF D3AD8C38 84E24184
	v_mfma_scale_f32_16x16x128_f8f6f4 a[60:63], v[132:135], v[36:39], a[60:63], v175, v169 op_sel_hi:[0,0,0] cbsz:4 blgp:4// 0000000054D0: D3AC7800 180353AF D3AD8C3C 84F24984
	ds_read_b128 v[68:71], v184 offset:576                     // 0000000054E0: D9FE0240 440000B8
	ds_read_b32 v171, v186 offset:3072                         // 0000000054E8: D86C0C00 AB0000BA
	v_mfma_scale_f32_16x16x128_f8f6f4 a[80:83], v[120:123], v[40:43], a[80:83], v175, v170 op_sel_hi:[0,0,0] cbsz:4 blgp:4// 0000000054F0: D3AC6000 000355AF D3AD8C50 85425178
	v_mfma_scale_f32_16x16x128_f8f6f4 a[84:87], v[120:123], v[44:47], a[84:87], v175, v170 op_sel_hi:[0,0,0] cbsz:4 blgp:4// 000000005500: D3AC7000 000355AF D3AD8C54 85525978
	ds_read_b128 v[72:75], v184 offset:4224                    // 000000005510: D9FE1080 480000B8
	v_mfma_scale_f32_16x16x128_f8f6f4 a[88:91], v[124:127], v[40:43], a[88:91], v175, v170 op_sel_hi:[0,0,0] cbsz:4 blgp:4// 000000005518: D3AC6800 000355AF D3AD8C58 8562517C
	v_mfma_scale_f32_16x16x128_f8f6f4 a[92:95], v[124:127], v[44:47], a[92:95], v175, v170 op_sel_hi:[0,0,0] cbsz:4 blgp:4// 000000005528: D3AC7800 000355AF D3AD8C5C 8572597C
	ds_read_b128 v[80:83], v184 offset:4288                    // 000000005538: D9FE10C0 500000B8
	v_mfma_scale_f32_16x16x128_f8f6f4 a[80:83], v[128:131], v[48:51], a[80:83], v175, v170 op_sel_hi:[0,0,0] cbsz:4 blgp:4// 000000005540: D3AC6000 180355AF D3AD8C50 85426180
	v_mfma_scale_f32_16x16x128_f8f6f4 a[84:87], v[128:131], v[52:55], a[84:87], v175, v170 op_sel_hi:[0,0,0] cbsz:4 blgp:4// 000000005550: D3AC7000 180355AF D3AD8C54 85526980
	ds_read_b128 v[76:79], v184 offset:4736                    // 000000005560: D9FE1280 4C0000B8
	v_mfma_scale_f32_16x16x128_f8f6f4 a[88:91], v[132:135], v[48:51], a[88:91], v175, v170 op_sel_hi:[0,0,0] cbsz:4 blgp:4// 000000005568: D3AC6800 180355AF D3AD8C58 85626184
	v_mfma_scale_f32_16x16x128_f8f6f4 a[92:95], v[132:135], v[52:55], a[92:95], v175, v170 op_sel_hi:[0,0,0] cbsz:4 blgp:4// 000000005578: D3AC7800 180355AF D3AD8C5C 85726984
	ds_read_b128 v[84:87], v184 offset:4800                    // 000000005588: D9FE12C0 540000B8
	ds_read_b32 v172, v186 offset:3328                         // 000000005590: D86C0D00 AC0000BA
	s_cbranch_scc0 label_0B8A                                  // 000000005598: BF840123
	s_waitcnt vmcnt(14) lgkmcnt(5)                             // 00000000559C: BF8C057E
	s_barrier                                                  // 0000000055A0: BF8A0000
	v_mfma_scale_f32_16x16x128_f8f6f4 a[0:3], v[136:139], v[56:59], a[0:3], v176, v171 op_sel_hi:[0,0,0] cbsz:4 blgp:4// 0000000055A4: D3AC6000 000357B0 D3AD8C00 84027188
	s_add_u32 s63, 0x200, s60                                  // 0000000055B4: 803F3CFF 00000200
	buffer_load_dwordx4 v[120:123], v189, s[16:19], 0 offen    // 0000000055BC: E05C1000 800478BD
	v_mfma_scale_f32_16x16x128_f8f6f4 a[4:7], v[136:139], v[60:63], a[4:7], v176, v171 op_sel_hi:[0,0,0] cbsz:4 blgp:4// 0000000055C4: D3AC7000 000357B0 D3AD8C04 84127988
	s_cmp_lt_u32 s63, s61                                      // 0000000055D4: BF0A3D3F
	ds_read_b128 v[88:91], v184 offset:8448                    // 0000000055D8: D9FE2100 580000B8
	v_mfma_scale_f32_16x16x128_f8f6f4 a[8:11], v[140:143], v[56:59], a[8:11], v176, v171 op_sel_hi:[0,0,0] cbsz:4 blgp:4// 0000000055E0: D3AC6800 000357B0 D3AD8C08 8422718C
	s_cselect_b32 s67, s67, 0                                  // 0000000055F0: 85438043
	buffer_load_dwordx4 v[124:127], v190, s[16:19], 0 offen    // 0000000055F4: E05C1000 80047CBE
	v_mfma_scale_f32_16x16x128_f8f6f4 a[12:15], v[140:143], v[60:63], a[12:15], v176, v171 op_sel_hi:[0,0,0] cbsz:4 blgp:4// 0000000055FC: D3AC7800 000357B0 D3AD8C0C 8432798C
	s_cselect_b32 s69, s69, 0                                  // 00000000560C: 85458045
	ds_read_b128 v[96:99], v184 offset:8512                    // 000000005610: D9FE2140 600000B8
	v_mfma_scale_f32_16x16x128_f8f6f4 a[0:3], v[144:147], v[64:67], a[0:3], v176, v171 op_sel_hi:[0,0,0] cbsz:4 blgp:4// 000000005618: D3AC6000 180357B0 D3AD8C00 84028190
	buffer_load_dwordx4 v[128:131], v189, s[16:19], 0 offen offset:1024// 000000005628: E05C1400 800480BD
	v_mfma_scale_f32_16x16x128_f8f6f4 a[4:7], v[144:147], v[68:71], a[4:7], v176, v171 op_sel_hi:[0,0,0] cbsz:4 blgp:4// 000000005630: D3AC7000 180357B0 D3AD8C04 84128990
	ds_read_b128 v[92:95], v184 offset:8960                    // 000000005640: D9FE2300 5C0000B8
	v_mfma_scale_f32_16x16x128_f8f6f4 a[8:11], v[148:151], v[64:67], a[8:11], v176, v171 op_sel_hi:[0,0,0] cbsz:4 blgp:4// 000000005648: D3AC6800 180357B0 D3AD8C08 84228194
	buffer_load_dwordx4 v[132:135], v190, s[16:19], 0 offen offset:1024// 000000005658: E05C1400 800484BE
	v_mfma_scale_f32_16x16x128_f8f6f4 a[12:15], v[148:151], v[68:71], a[12:15], v176, v171 op_sel_hi:[0,0,0] cbsz:4 blgp:4// 000000005660: D3AC7800 180357B0 D3AD8C0C 84328994
	ds_read_b128 v[100:103], v184 offset:9024                  // 000000005670: D9FE2340 640000B8
	ds_read_b32 v173, v186 offset:3584                         // 000000005678: D86C0E00 AD0000BA
	s_waitcnt lgkmcnt(5)                                       // 000000005680: BF8CC57F
	v_mfma_scale_f32_16x16x128_f8f6f4 a[32:35], v[136:139], v[72:75], a[32:35], v176, v172 op_sel_hi:[0,0,0] cbsz:4 blgp:4// 000000005684: D3AC6000 000359B0 D3AD8C20 84829188
	buffer_load_dword v175, v192, s[24:27], 0 offen            // 000000005694: E0501000 8006AFC0
	v_mfma_scale_f32_16x16x128_f8f6f4 a[36:39], v[136:139], v[76:79], a[36:39], v176, v172 op_sel_hi:[0,0,0] cbsz:4 blgp:4// 00000000569C: D3AC7000 000359B0 D3AD8C24 84929988
	s_add_u32 s16, s16, s67                                    // 0000000056AC: 80104310
	s_addc_u32 s17, 0, s17                                     // 0000000056B0: 82111180
	v_mfma_scale_f32_16x16x128_f8f6f4 a[40:43], v[140:143], v[72:75], a[40:43], v176, v172 op_sel_hi:[0,0,0] cbsz:4 blgp:4// 0000000056B4: D3AC6800 000359B0 D3AD8C28 84A2918C
	s_sub_u32 s18, s18, s67                                    // 0000000056C4: 80924312
	s_add_u32 s24, s24, s69                                    // 0000000056C8: 80184518
	v_mfma_scale_f32_16x16x128_f8f6f4 a[44:47], v[140:143], v[76:79], a[44:47], v176, v172 op_sel_hi:[0,0,0] cbsz:4 blgp:4// 0000000056CC: D3AC7800 000359B0 D3AD8C2C 84B2998C
	s_addc_u32 s25, 0, s25                                     // 0000000056DC: 82191980
	s_sub_u32 s26, s26, s69                                    // 0000000056E0: 809A451A
	v_mfma_scale_f32_16x16x128_f8f6f4 a[32:35], v[144:147], v[80:83], a[32:35], v176, v172 op_sel_hi:[0,0,0] cbsz:4 blgp:4// 0000000056E4: D3AC6000 180359B0 D3AD8C20 8482A190
	s_add_u32 m0, 0x400, s65                                   // 0000000056F4: 807C41FF 00000400
	buffer_load_dword v185, s[20:23], 0 offen lds              // 0000000056FC: E0511000 800500B9
	v_mfma_scale_f32_16x16x128_f8f6f4 a[36:39], v[144:147], v[84:87], a[36:39], v176, v172 op_sel_hi:[0,0,0] cbsz:4 blgp:4// 000000005704: D3AC7000 180359B0 D3AD8C24 8492A990
	v_mfma_scale_f32_16x16x128_f8f6f4 a[40:43], v[148:151], v[80:83], a[40:43], v176, v172 op_sel_hi:[0,0,0] cbsz:4 blgp:4// 000000005714: D3AC6800 180359B0 D3AD8C28 84A2A194
	s_add_u32 m0, 0x3180, s64                                  // 000000005724: 807C40FF 00003180
	buffer_load_dwordx4 v178, s[12:15], 0 offen lds            // 00000000572C: E05D1000 800300B2
	v_mfma_scale_f32_16x16x128_f8f6f4 a[44:47], v[148:151], v[84:87], a[44:47], v176, v172 op_sel_hi:[0,0,0] cbsz:4 blgp:4// 000000005734: D3AC7800 180359B0 D3AD8C2C 84B2A994
	s_waitcnt lgkmcnt(0)                                       // 000000005744: BF8CC07F
	v_mfma_scale_f32_16x16x128_f8f6f4 a[64:67], v[136:139], v[88:91], a[64:67], v176, v173 op_sel_hi:[0,0,0] cbsz:4 blgp:4// 000000005748: D3AC6000 00035BB0 D3AD8C40 8502B188
	v_mfma_scale_f32_16x16x128_f8f6f4 a[68:71], v[136:139], v[92:95], a[68:71], v176, v173 op_sel_hi:[0,0,0] cbsz:4 blgp:4// 000000005758: D3AC7000 00035BB0 D3AD8C44 8512B988
	v_mfma_scale_f32_16x16x128_f8f6f4 a[72:75], v[140:143], v[88:91], a[72:75], v176, v173 op_sel_hi:[0,0,0] cbsz:4 blgp:4// 000000005768: D3AC6800 00035BB0 D3AD8C48 8522B18C
	v_mfma_scale_f32_16x16x128_f8f6f4 a[76:79], v[140:143], v[92:95], a[76:79], v176, v173 op_sel_hi:[0,0,0] cbsz:4 blgp:4// 000000005778: D3AC7800 00035BB0 D3AD8C4C 8532B98C
	v_mfma_scale_f32_16x16x128_f8f6f4 a[64:67], v[144:147], v[96:99], a[64:67], v176, v173 op_sel_hi:[0,0,0] cbsz:4 blgp:4// 000000005788: D3AC6000 18035BB0 D3AD8C40 8502C190
	v_mfma_scale_f32_16x16x128_f8f6f4 a[68:71], v[144:147], v[100:103], a[68:71], v176, v173 op_sel_hi:[0,0,0] cbsz:4 blgp:4// 000000005798: D3AC7000 18035BB0 D3AD8C44 8512C990
	v_mfma_scale_f32_16x16x128_f8f6f4 a[72:75], v[148:151], v[96:99], a[72:75], v176, v173 op_sel_hi:[0,0,0] cbsz:4 blgp:4// 0000000057A8: D3AC6800 18035BB0 D3AD8C48 8522C194
	v_mfma_scale_f32_16x16x128_f8f6f4 a[76:79], v[148:151], v[100:103], a[76:79], v176, v173 op_sel_hi:[0,0,0] cbsz:4 blgp:4// 0000000057B8: D3AC7800 18035BB0 D3AD8C4C 8532C994
	s_waitcnt vmcnt(16)                                        // 0000000057C8: BF8C4F70
	v_mfma_scale_f32_16x16x128_f8f6f4 a[16:19], v[152:155], v[56:59], a[16:19], v177, v171 op_sel_hi:[0,0,0] cbsz:4 blgp:4// 0000000057CC: D3AC6000 000357B1 D3AD8C10 84427198
	s_add_u32 m0, 0x4200, s64                                  // 0000000057DC: 807C40FF 00004200
	buffer_load_dwordx4 v179, s[12:15], 0 offen lds            // 0000000057E4: E05D1000 800300B3
	v_mfma_scale_f32_16x16x128_f8f6f4 a[20:23], v[152:155], v[60:63], a[20:23], v177, v171 op_sel_hi:[0,0,0] cbsz:4 blgp:4// 0000000057EC: D3AC7000 000357B1 D3AD8C14 84527998
	v_mfma_scale_f32_16x16x128_f8f6f4 a[24:27], v[156:159], v[56:59], a[24:27], v177, v171 op_sel_hi:[0,0,0] cbsz:4 blgp:4// 0000000057FC: D3AC6800 000357B1 D3AD8C18 8462719C
	s_add_u32 m0, 0x5280, s64                                  // 00000000580C: 807C40FF 00005280
	buffer_load_dwordx4 v180, s[12:15], 0 offen lds            // 000000005814: E05D1000 800300B4
	v_mfma_scale_f32_16x16x128_f8f6f4 a[28:31], v[156:159], v[60:63], a[28:31], v177, v171 op_sel_hi:[0,0,0] cbsz:4 blgp:4// 00000000581C: D3AC7800 000357B1 D3AD8C1C 8472799C
	s_add_u32 s62, 0x300, s60                                  // 00000000582C: 803E3CFF 00000300
	s_cmp_lt_u32 s62, s61                                      // 000000005834: BF0A3D3E
	v_mfma_scale_f32_16x16x128_f8f6f4 a[16:19], v[160:163], v[64:67], a[16:19], v177, v171 op_sel_hi:[0,0,0] cbsz:4 blgp:4// 000000005838: D3AC6000 180357B1 D3AD8C10 844281A0
	s_cselect_b32 s66, s66, 0                                  // 000000005848: 85428042
	buffer_load_dwordx4 v[136:139], v187, s[16:19], 0 offen    // 00000000584C: E05C1000 800488BB
	v_mfma_scale_f32_16x16x128_f8f6f4 a[20:23], v[160:163], v[68:71], a[20:23], v177, v171 op_sel_hi:[0,0,0] cbsz:4 blgp:4// 000000005854: D3AC7000 180357B1 D3AD8C14 845289A0
	s_cselect_b32 s68, s68, 0                                  // 000000005864: 85448044
	s_add_u32 s12, s12, s66                                    // 000000005868: 800C420C
	v_mfma_scale_f32_16x16x128_f8f6f4 a[24:27], v[164:167], v[64:67], a[24:27], v177, v171 op_sel_hi:[0,0,0] cbsz:4 blgp:4// 00000000586C: D3AC6800 180357B1 D3AD8C18 846281A4
	s_addc_u32 s13, 0, s13                                     // 00000000587C: 820D0D80
	buffer_load_dwordx4 v[140:143], v188, s[16:19], 0 offen    // 000000005880: E05C1000 80048CBC
	v_mfma_scale_f32_16x16x128_f8f6f4 a[28:31], v[164:167], v[68:71], a[28:31], v177, v171 op_sel_hi:[0,0,0] cbsz:4 blgp:4// 000000005888: D3AC7800 180357B1 D3AD8C1C 847289A4
	s_sub_u32 s14, s14, s66                                    // 000000005898: 808E420E
	s_add_u32 s20, s20, s68                                    // 00000000589C: 80144414
	s_waitcnt vmcnt(17)                                        // 0000000058A0: BF8C4F71
	s_barrier                                                  // 0000000058A4: BF8A0000
	v_mfma_scale_f32_16x16x128_f8f6f4 a[48:51], v[152:155], v[72:75], a[48:51], v177, v172 op_sel_hi:[0,0,0] cbsz:4 blgp:4// 0000000058A8: D3AC6000 000359B1 D3AD8C30 84C29198
	s_addc_u32 s21, 0, s21                                     // 0000000058B8: 82151580
	buffer_load_dwordx4 v[144:147], v187, s[16:19], 0 offen offset:1024// 0000000058BC: E05C1400 800490BB
	v_mfma_scale_f32_16x16x128_f8f6f4 a[52:55], v[152:155], v[76:79], a[52:55], v177, v172 op_sel_hi:[0,0,0] cbsz:4 blgp:4// 0000000058C4: D3AC7000 000359B1 D3AD8C34 84D29998
	s_sub_u32 s22, s22, s68                                    // 0000000058D4: 80964416
	ds_read_b128 v[8:11], v181                                 // 0000000058D8: D9FE0000 080000B5
	v_mfma_scale_f32_16x16x128_f8f6f4 a[56:59], v[156:159], v[72:75], a[56:59], v177, v172 op_sel_hi:[0,0,0] cbsz:4 blgp:4// 0000000058E0: D3AC6800 000359B1 D3AD8C38 84E2919C
	s_addk_i32 s60, 0x100                                      // 0000000058F0: B73C0100
	buffer_load_dwordx4 v[148:151], v188, s[16:19], 0 offen offset:1024// 0000000058F4: E05C1400 800494BC
	v_mfma_scale_f32_16x16x128_f8f6f4 a[60:63], v[156:159], v[76:79], a[60:63], v177, v172 op_sel_hi:[0,0,0] cbsz:4 blgp:4// 0000000058FC: D3AC7800 000359B1 D3AD8C3C 84F2999C
	s_cmp_lt_i32 s60, s61                                      // 00000000590C: BF043D3C
	ds_read_b128 v[16:19], v181 offset:64                      // 000000005910: D9FE0040 100000B5
	v_mfma_scale_f32_16x16x128_f8f6f4 a[48:51], v[160:163], v[80:83], a[48:51], v177, v172 op_sel_hi:[0,0,0] cbsz:4 blgp:4// 000000005918: D3AC6000 180359B1 D3AD8C30 84C2A1A0
	buffer_load_dword v176, v191, s[24:27], 0 offen            // 000000005928: E0501000 8006B0BF
	v_mfma_scale_f32_16x16x128_f8f6f4 a[52:55], v[160:163], v[84:87], a[52:55], v177, v172 op_sel_hi:[0,0,0] cbsz:4 blgp:4// 000000005930: D3AC7000 180359B1 D3AD8C34 84D2A9A0
	ds_read_b128 v[12:15], v181 offset:512                     // 000000005940: D9FE0200 0C0000B5
	v_mfma_scale_f32_16x16x128_f8f6f4 a[56:59], v[164:167], v[80:83], a[56:59], v177, v172 op_sel_hi:[0,0,0] cbsz:4 blgp:4// 000000005948: D3AC6800 180359B1 D3AD8C38 84E2A1A4
	v_mfma_scale_f32_16x16x128_f8f6f4 a[60:63], v[164:167], v[84:87], a[60:63], v177, v172 op_sel_hi:[0,0,0] cbsz:4 blgp:4// 000000005958: D3AC7800 180359B1 D3AD8C3C 84F2A9A4
	ds_read_b128 v[20:23], v181 offset:576                     // 000000005968: D9FE0240 140000B5
	ds_read_b32 v168, v186                                     // 000000005970: D86C0000 A80000BA
	v_mfma_scale_f32_16x16x128_f8f6f4 a[80:83], v[152:155], v[88:91], a[80:83], v177, v173 op_sel_hi:[0,0,0] cbsz:4 blgp:4// 000000005978: D3AC6000 00035BB1 D3AD8C50 8542B198
	v_mfma_scale_f32_16x16x128_f8f6f4 a[84:87], v[152:155], v[92:95], a[84:87], v177, v173 op_sel_hi:[0,0,0] cbsz:4 blgp:4// 000000005988: D3AC7000 00035BB1 D3AD8C54 8552B998
	ds_read_b128 v[24:27], v181 offset:4224                    // 000000005998: D9FE1080 180000B5
	v_mfma_scale_f32_16x16x128_f8f6f4 a[88:91], v[156:159], v[88:91], a[88:91], v177, v173 op_sel_hi:[0,0,0] cbsz:4 blgp:4// 0000000059A0: D3AC6800 00035BB1 D3AD8C58 8562B19C
	v_mfma_scale_f32_16x16x128_f8f6f4 a[92:95], v[156:159], v[92:95], a[92:95], v177, v173 op_sel_hi:[0,0,0] cbsz:4 blgp:4// 0000000059B0: D3AC7800 00035BB1 D3AD8C5C 8572B99C
	ds_read_b128 v[32:35], v181 offset:4288                    // 0000000059C0: D9FE10C0 200000B5
	v_mfma_scale_f32_16x16x128_f8f6f4 a[80:83], v[160:163], v[96:99], a[80:83], v177, v173 op_sel_hi:[0,0,0] cbsz:4 blgp:4// 0000000059C8: D3AC6000 18035BB1 D3AD8C50 8542C1A0
	v_mfma_scale_f32_16x16x128_f8f6f4 a[84:87], v[160:163], v[100:103], a[84:87], v177, v173 op_sel_hi:[0,0,0] cbsz:4 blgp:4// 0000000059D8: D3AC7000 18035BB1 D3AD8C54 8552C9A0
	ds_read_b128 v[28:31], v181 offset:4736                    // 0000000059E8: D9FE1280 1C0000B5
	v_mfma_scale_f32_16x16x128_f8f6f4 a[88:91], v[164:167], v[96:99], a[88:91], v177, v173 op_sel_hi:[0,0,0] cbsz:4 blgp:4// 0000000059F0: D3AC6800 18035BB1 D3AD8C58 8562C1A4
	v_mfma_scale_f32_16x16x128_f8f6f4 a[92:95], v[164:167], v[100:103], a[92:95], v177, v173 op_sel_hi:[0,0,0] cbsz:4 blgp:4// 000000005A00: D3AC7800 18035BB1 D3AD8C5C 8572C9A4
	ds_read_b128 v[36:39], v181 offset:4800                    // 000000005A10: D9FE12C0 240000B5
	ds_read_b32 v169, v186 offset:256                          // 000000005A18: D86C0100 A90000BA
	s_cbranch_scc0 label_0B8A                                  // 000000005A20: BF840001
	s_branch label_0703                                        // 000000005A24: BF82FB79

0000000000005a28 <label_0B8A>:
	s_waitcnt lgkmcnt(0)                                       // 000000005A28: BF8CC07F
	s_mul_i32 s62, s47, 0x100                                  // 000000005A2C: 923EFF2F 00000100
	s_mul_i32 s63, s46, 64                                     // 000000005A34: 923FC02E
	s_add_u32 s60, s62, s63                                    // 000000005A38: 803C3F3E
	s_add_u32 s62, s60, 64                                     // 000000005A3C: 803EC03C
	s_cmp_lt_i32 s44, s62                                      // 000000005A40: BF043E2C
	s_cbranch_scc1 label_0D16                                  // 000000005A44: BF850184
	s_mul_i32 s62, s36, 16                                     // 000000005A48: 923E9024
	v_add_u32_e32 v197, 0, v193                                // 000000005A4C: 698B8280
	v_accvgpr_read_b32 v8, a0                                  // 000000005A50: D3D84008 18000100
	v_accvgpr_read_b32 v9, a1                                  // 000000005A58: D3D84009 18000101
	v_accvgpr_read_b32 v10, a2                                 // 000000005A60: D3D8400A 18000102
	v_accvgpr_read_b32 v11, a3                                 // 000000005A68: D3D8400B 18000103
	v_accvgpr_read_b32 v12, a8                                 // 000000005A70: D3D8400C 18000108
	v_accvgpr_read_b32 v13, a9                                 // 000000005A78: D3D8400D 18000109
	v_accvgpr_read_b32 v14, a10                                // 000000005A80: D3D8400E 1800010A
	v_accvgpr_read_b32 v15, a11                                // 000000005A88: D3D8400F 1800010B
	v_cvt_pk_bf16_f32 v16, v8, v9                              // 000000005A90: D2680010 00021308
	v_cvt_pk_bf16_f32 v17, v10, v11                            // 000000005A98: D2680011 0002170A
	v_cvt_pk_bf16_f32 v18, v12, v13                            // 000000005AA0: D2680012 00021B0C
	v_cvt_pk_bf16_f32 v19, v14, v15                            // 000000005AA8: D2680013 00021F0E
	s_nop 1                                                    // 000000005AB0: BF800001
	v_permlane16_swap_b32_e32 v16, v18                         // 000000005AB4: 7E20B312
	s_nop 1                                                    // 000000005AB8: BF800001
	v_permlane16_swap_b32_e32 v17, v19                         // 000000005ABC: 7E22B313
	s_nop 1                                                    // 000000005AC0: BF800001
	buffer_store_dwordx4 v[16:19], v197, s[4:7], 0 offen       // 000000005AC4: E07C1000 800110C5
	v_add_u32_e32 v197, s62, v197                              // 000000005ACC: 698B8A3E
	v_accvgpr_read_b32 v8, a4                                  // 000000005AD0: D3D84008 18000104
	v_accvgpr_read_b32 v9, a5                                  // 000000005AD8: D3D84009 18000105
	v_accvgpr_read_b32 v10, a6                                 // 000000005AE0: D3D8400A 18000106
	v_accvgpr_read_b32 v11, a7                                 // 000000005AE8: D3D8400B 18000107
	v_accvgpr_read_b32 v12, a12                                // 000000005AF0: D3D8400C 1800010C
	v_accvgpr_read_b32 v13, a13                                // 000000005AF8: D3D8400D 1800010D
	v_accvgpr_read_b32 v14, a14                                // 000000005B00: D3D8400E 1800010E
	v_accvgpr_read_b32 v15, a15                                // 000000005B08: D3D8400F 1800010F
	v_cvt_pk_bf16_f32 v16, v8, v9                              // 000000005B10: D2680010 00021308
	v_cvt_pk_bf16_f32 v17, v10, v11                            // 000000005B18: D2680011 0002170A
	v_cvt_pk_bf16_f32 v18, v12, v13                            // 000000005B20: D2680012 00021B0C
	v_cvt_pk_bf16_f32 v19, v14, v15                            // 000000005B28: D2680013 00021F0E
	s_nop 1                                                    // 000000005B30: BF800001
	v_permlane16_swap_b32_e32 v16, v18                         // 000000005B34: 7E20B312
	s_nop 1                                                    // 000000005B38: BF800001
	v_permlane16_swap_b32_e32 v17, v19                         // 000000005B3C: 7E22B313
	s_nop 1                                                    // 000000005B40: BF800001
	buffer_store_dwordx4 v[16:19], v197, s[4:7], 0 offen       // 000000005B44: E07C1000 800110C5
	v_add_u32_e32 v197, s62, v197                              // 000000005B4C: 698B8A3E
	v_accvgpr_read_b32 v8, a32                                 // 000000005B50: D3D84008 18000120
	v_accvgpr_read_b32 v9, a33                                 // 000000005B58: D3D84009 18000121
	v_accvgpr_read_b32 v10, a34                                // 000000005B60: D3D8400A 18000122
	v_accvgpr_read_b32 v11, a35                                // 000000005B68: D3D8400B 18000123
	v_accvgpr_read_b32 v12, a40                                // 000000005B70: D3D8400C 18000128
	v_accvgpr_read_b32 v13, a41                                // 000000005B78: D3D8400D 18000129
	v_accvgpr_read_b32 v14, a42                                // 000000005B80: D3D8400E 1800012A
	v_accvgpr_read_b32 v15, a43                                // 000000005B88: D3D8400F 1800012B
	v_cvt_pk_bf16_f32 v16, v8, v9                              // 000000005B90: D2680010 00021308
	v_cvt_pk_bf16_f32 v17, v10, v11                            // 000000005B98: D2680011 0002170A
	v_cvt_pk_bf16_f32 v18, v12, v13                            // 000000005BA0: D2680012 00021B0C
	v_cvt_pk_bf16_f32 v19, v14, v15                            // 000000005BA8: D2680013 00021F0E
	s_nop 1                                                    // 000000005BB0: BF800001
	v_permlane16_swap_b32_e32 v16, v18                         // 000000005BB4: 7E20B312
	s_nop 1                                                    // 000000005BB8: BF800001
	v_permlane16_swap_b32_e32 v17, v19                         // 000000005BBC: 7E22B313
	s_nop 1                                                    // 000000005BC0: BF800001
	buffer_store_dwordx4 v[16:19], v197, s[4:7], 0 offen       // 000000005BC4: E07C1000 800110C5
	v_add_u32_e32 v197, s62, v197                              // 000000005BCC: 698B8A3E
	v_accvgpr_read_b32 v8, a36                                 // 000000005BD0: D3D84008 18000124
	v_accvgpr_read_b32 v9, a37                                 // 000000005BD8: D3D84009 18000125
	v_accvgpr_read_b32 v10, a38                                // 000000005BE0: D3D8400A 18000126
	v_accvgpr_read_b32 v11, a39                                // 000000005BE8: D3D8400B 18000127
	v_accvgpr_read_b32 v12, a44                                // 000000005BF0: D3D8400C 1800012C
	v_accvgpr_read_b32 v13, a45                                // 000000005BF8: D3D8400D 1800012D
	v_accvgpr_read_b32 v14, a46                                // 000000005C00: D3D8400E 1800012E
	v_accvgpr_read_b32 v15, a47                                // 000000005C08: D3D8400F 1800012F
	v_cvt_pk_bf16_f32 v16, v8, v9                              // 000000005C10: D2680010 00021308
	v_cvt_pk_bf16_f32 v17, v10, v11                            // 000000005C18: D2680011 0002170A
	v_cvt_pk_bf16_f32 v18, v12, v13                            // 000000005C20: D2680012 00021B0C
	v_cvt_pk_bf16_f32 v19, v14, v15                            // 000000005C28: D2680013 00021F0E
	s_nop 1                                                    // 000000005C30: BF800001
	v_permlane16_swap_b32_e32 v16, v18                         // 000000005C34: 7E20B312
	s_nop 1                                                    // 000000005C38: BF800001
	v_permlane16_swap_b32_e32 v17, v19                         // 000000005C3C: 7E22B313
	s_nop 1                                                    // 000000005C40: BF800001
	buffer_store_dwordx4 v[16:19], v197, s[4:7], 0 offen       // 000000005C44: E07C1000 800110C5
	v_add_u32_e32 v197, s62, v197                              // 000000005C4C: 698B8A3E
	v_accvgpr_read_b32 v8, a64                                 // 000000005C50: D3D84008 18000140
	v_accvgpr_read_b32 v9, a65                                 // 000000005C58: D3D84009 18000141
	v_accvgpr_read_b32 v10, a66                                // 000000005C60: D3D8400A 18000142
	v_accvgpr_read_b32 v11, a67                                // 000000005C68: D3D8400B 18000143
	v_accvgpr_read_b32 v12, a72                                // 000000005C70: D3D8400C 18000148
	v_accvgpr_read_b32 v13, a73                                // 000000005C78: D3D8400D 18000149
	v_accvgpr_read_b32 v14, a74                                // 000000005C80: D3D8400E 1800014A
	v_accvgpr_read_b32 v15, a75                                // 000000005C88: D3D8400F 1800014B
	v_cvt_pk_bf16_f32 v16, v8, v9                              // 000000005C90: D2680010 00021308
	v_cvt_pk_bf16_f32 v17, v10, v11                            // 000000005C98: D2680011 0002170A
	v_cvt_pk_bf16_f32 v18, v12, v13                            // 000000005CA0: D2680012 00021B0C
	v_cvt_pk_bf16_f32 v19, v14, v15                            // 000000005CA8: D2680013 00021F0E
	s_nop 1                                                    // 000000005CB0: BF800001
	v_permlane16_swap_b32_e32 v16, v18                         // 000000005CB4: 7E20B312
	s_nop 1                                                    // 000000005CB8: BF800001
	v_permlane16_swap_b32_e32 v17, v19                         // 000000005CBC: 7E22B313
	s_nop 1                                                    // 000000005CC0: BF800001
	buffer_store_dwordx4 v[16:19], v197, s[4:7], 0 offen       // 000000005CC4: E07C1000 800110C5
	v_add_u32_e32 v197, s62, v197                              // 000000005CCC: 698B8A3E
	v_accvgpr_read_b32 v8, a68                                 // 000000005CD0: D3D84008 18000144
	v_accvgpr_read_b32 v9, a69                                 // 000000005CD8: D3D84009 18000145
	v_accvgpr_read_b32 v10, a70                                // 000000005CE0: D3D8400A 18000146
	v_accvgpr_read_b32 v11, a71                                // 000000005CE8: D3D8400B 18000147
	v_accvgpr_read_b32 v12, a76                                // 000000005CF0: D3D8400C 1800014C
	v_accvgpr_read_b32 v13, a77                                // 000000005CF8: D3D8400D 1800014D
	v_accvgpr_read_b32 v14, a78                                // 000000005D00: D3D8400E 1800014E
	v_accvgpr_read_b32 v15, a79                                // 000000005D08: D3D8400F 1800014F
	v_cvt_pk_bf16_f32 v16, v8, v9                              // 000000005D10: D2680010 00021308
	v_cvt_pk_bf16_f32 v17, v10, v11                            // 000000005D18: D2680011 0002170A
	v_cvt_pk_bf16_f32 v18, v12, v13                            // 000000005D20: D2680012 00021B0C
	v_cvt_pk_bf16_f32 v19, v14, v15                            // 000000005D28: D2680013 00021F0E
	s_nop 1                                                    // 000000005D30: BF800001
	v_permlane16_swap_b32_e32 v16, v18                         // 000000005D34: 7E20B312
	s_nop 1                                                    // 000000005D38: BF800001
	v_permlane16_swap_b32_e32 v17, v19                         // 000000005D3C: 7E22B313
	s_nop 1                                                    // 000000005D40: BF800001
	buffer_store_dwordx4 v[16:19], v197, s[4:7], 0 offen       // 000000005D44: E07C1000 800110C5
	v_add_u32_e32 v197, s62, v197                              // 000000005D4C: 698B8A3E
	v_add_u32_e32 v197, 64, v193                               // 000000005D50: 698B82C0
	v_accvgpr_read_b32 v8, a16                                 // 000000005D54: D3D84008 18000110
	v_accvgpr_read_b32 v9, a17                                 // 000000005D5C: D3D84009 18000111
	v_accvgpr_read_b32 v10, a18                                // 000000005D64: D3D8400A 18000112
	v_accvgpr_read_b32 v11, a19                                // 000000005D6C: D3D8400B 18000113
	v_accvgpr_read_b32 v12, a24                                // 000000005D74: D3D8400C 18000118
	v_accvgpr_read_b32 v13, a25                                // 000000005D7C: D3D8400D 18000119
	v_accvgpr_read_b32 v14, a26                                // 000000005D84: D3D8400E 1800011A
	v_accvgpr_read_b32 v15, a27                                // 000000005D8C: D3D8400F 1800011B
	v_cvt_pk_bf16_f32 v16, v8, v9                              // 000000005D94: D2680010 00021308
	v_cvt_pk_bf16_f32 v17, v10, v11                            // 000000005D9C: D2680011 0002170A
	v_cvt_pk_bf16_f32 v18, v12, v13                            // 000000005DA4: D2680012 00021B0C
	v_cvt_pk_bf16_f32 v19, v14, v15                            // 000000005DAC: D2680013 00021F0E
	s_nop 1                                                    // 000000005DB4: BF800001
	v_permlane16_swap_b32_e32 v16, v18                         // 000000005DB8: 7E20B312
	s_nop 1                                                    // 000000005DBC: BF800001
	v_permlane16_swap_b32_e32 v17, v19                         // 000000005DC0: 7E22B313
	s_nop 1                                                    // 000000005DC4: BF800001
	buffer_store_dwordx4 v[16:19], v197, s[4:7], 0 offen       // 000000005DC8: E07C1000 800110C5
	v_add_u32_e32 v197, s62, v197                              // 000000005DD0: 698B8A3E
	v_accvgpr_read_b32 v8, a20                                 // 000000005DD4: D3D84008 18000114
	v_accvgpr_read_b32 v9, a21                                 // 000000005DDC: D3D84009 18000115
	v_accvgpr_read_b32 v10, a22                                // 000000005DE4: D3D8400A 18000116
	v_accvgpr_read_b32 v11, a23                                // 000000005DEC: D3D8400B 18000117
	v_accvgpr_read_b32 v12, a28                                // 000000005DF4: D3D8400C 1800011C
	v_accvgpr_read_b32 v13, a29                                // 000000005DFC: D3D8400D 1800011D
	v_accvgpr_read_b32 v14, a30                                // 000000005E04: D3D8400E 1800011E
	v_accvgpr_read_b32 v15, a31                                // 000000005E0C: D3D8400F 1800011F
	v_cvt_pk_bf16_f32 v16, v8, v9                              // 000000005E14: D2680010 00021308
	v_cvt_pk_bf16_f32 v17, v10, v11                            // 000000005E1C: D2680011 0002170A
	v_cvt_pk_bf16_f32 v18, v12, v13                            // 000000005E24: D2680012 00021B0C
	v_cvt_pk_bf16_f32 v19, v14, v15                            // 000000005E2C: D2680013 00021F0E
	s_nop 1                                                    // 000000005E34: BF800001
	v_permlane16_swap_b32_e32 v16, v18                         // 000000005E38: 7E20B312
	s_nop 1                                                    // 000000005E3C: BF800001
	v_permlane16_swap_b32_e32 v17, v19                         // 000000005E40: 7E22B313
	s_nop 1                                                    // 000000005E44: BF800001
	buffer_store_dwordx4 v[16:19], v197, s[4:7], 0 offen       // 000000005E48: E07C1000 800110C5
	v_add_u32_e32 v197, s62, v197                              // 000000005E50: 698B8A3E
	v_accvgpr_read_b32 v8, a48                                 // 000000005E54: D3D84008 18000130
	v_accvgpr_read_b32 v9, a49                                 // 000000005E5C: D3D84009 18000131
	v_accvgpr_read_b32 v10, a50                                // 000000005E64: D3D8400A 18000132
	v_accvgpr_read_b32 v11, a51                                // 000000005E6C: D3D8400B 18000133
	v_accvgpr_read_b32 v12, a56                                // 000000005E74: D3D8400C 18000138
	v_accvgpr_read_b32 v13, a57                                // 000000005E7C: D3D8400D 18000139
	v_accvgpr_read_b32 v14, a58                                // 000000005E84: D3D8400E 1800013A
	v_accvgpr_read_b32 v15, a59                                // 000000005E8C: D3D8400F 1800013B
	v_cvt_pk_bf16_f32 v16, v8, v9                              // 000000005E94: D2680010 00021308
	v_cvt_pk_bf16_f32 v17, v10, v11                            // 000000005E9C: D2680011 0002170A
	v_cvt_pk_bf16_f32 v18, v12, v13                            // 000000005EA4: D2680012 00021B0C
	v_cvt_pk_bf16_f32 v19, v14, v15                            // 000000005EAC: D2680013 00021F0E
	s_nop 1                                                    // 000000005EB4: BF800001
	v_permlane16_swap_b32_e32 v16, v18                         // 000000005EB8: 7E20B312
	s_nop 1                                                    // 000000005EBC: BF800001
	v_permlane16_swap_b32_e32 v17, v19                         // 000000005EC0: 7E22B313
	s_nop 1                                                    // 000000005EC4: BF800001
	buffer_store_dwordx4 v[16:19], v197, s[4:7], 0 offen       // 000000005EC8: E07C1000 800110C5
	v_add_u32_e32 v197, s62, v197                              // 000000005ED0: 698B8A3E
	v_accvgpr_read_b32 v8, a52                                 // 000000005ED4: D3D84008 18000134
	v_accvgpr_read_b32 v9, a53                                 // 000000005EDC: D3D84009 18000135
	v_accvgpr_read_b32 v10, a54                                // 000000005EE4: D3D8400A 18000136
	v_accvgpr_read_b32 v11, a55                                // 000000005EEC: D3D8400B 18000137
	v_accvgpr_read_b32 v12, a60                                // 000000005EF4: D3D8400C 1800013C
	v_accvgpr_read_b32 v13, a61                                // 000000005EFC: D3D8400D 1800013D
	v_accvgpr_read_b32 v14, a62                                // 000000005F04: D3D8400E 1800013E
	v_accvgpr_read_b32 v15, a63                                // 000000005F0C: D3D8400F 1800013F
	v_cvt_pk_bf16_f32 v16, v8, v9                              // 000000005F14: D2680010 00021308
	v_cvt_pk_bf16_f32 v17, v10, v11                            // 000000005F1C: D2680011 0002170A
	v_cvt_pk_bf16_f32 v18, v12, v13                            // 000000005F24: D2680012 00021B0C
	v_cvt_pk_bf16_f32 v19, v14, v15                            // 000000005F2C: D2680013 00021F0E
	s_nop 1                                                    // 000000005F34: BF800001
	v_permlane16_swap_b32_e32 v16, v18                         // 000000005F38: 7E20B312
	s_nop 1                                                    // 000000005F3C: BF800001
	v_permlane16_swap_b32_e32 v17, v19                         // 000000005F40: 7E22B313
	s_nop 1                                                    // 000000005F44: BF800001
	buffer_store_dwordx4 v[16:19], v197, s[4:7], 0 offen       // 000000005F48: E07C1000 800110C5
	v_add_u32_e32 v197, s62, v197                              // 000000005F50: 698B8A3E
	v_accvgpr_read_b32 v8, a80                                 // 000000005F54: D3D84008 18000150
	v_accvgpr_read_b32 v9, a81                                 // 000000005F5C: D3D84009 18000151
	v_accvgpr_read_b32 v10, a82                                // 000000005F64: D3D8400A 18000152
	v_accvgpr_read_b32 v11, a83                                // 000000005F6C: D3D8400B 18000153
	v_accvgpr_read_b32 v12, a88                                // 000000005F74: D3D8400C 18000158
	v_accvgpr_read_b32 v13, a89                                // 000000005F7C: D3D8400D 18000159
	v_accvgpr_read_b32 v14, a90                                // 000000005F84: D3D8400E 1800015A
	v_accvgpr_read_b32 v15, a91                                // 000000005F8C: D3D8400F 1800015B
	v_cvt_pk_bf16_f32 v16, v8, v9                              // 000000005F94: D2680010 00021308
	v_cvt_pk_bf16_f32 v17, v10, v11                            // 000000005F9C: D2680011 0002170A
	v_cvt_pk_bf16_f32 v18, v12, v13                            // 000000005FA4: D2680012 00021B0C
	v_cvt_pk_bf16_f32 v19, v14, v15                            // 000000005FAC: D2680013 00021F0E
	s_nop 1                                                    // 000000005FB4: BF800001
	v_permlane16_swap_b32_e32 v16, v18                         // 000000005FB8: 7E20B312
	s_nop 1                                                    // 000000005FBC: BF800001
	v_permlane16_swap_b32_e32 v17, v19                         // 000000005FC0: 7E22B313
	s_nop 1                                                    // 000000005FC4: BF800001
	buffer_store_dwordx4 v[16:19], v197, s[4:7], 0 offen       // 000000005FC8: E07C1000 800110C5
	v_add_u32_e32 v197, s62, v197                              // 000000005FD0: 698B8A3E
	v_accvgpr_read_b32 v8, a84                                 // 000000005FD4: D3D84008 18000154
	v_accvgpr_read_b32 v9, a85                                 // 000000005FDC: D3D84009 18000155
	v_accvgpr_read_b32 v10, a86                                // 000000005FE4: D3D8400A 18000156
	v_accvgpr_read_b32 v11, a87                                // 000000005FEC: D3D8400B 18000157
	v_accvgpr_read_b32 v12, a92                                // 000000005FF4: D3D8400C 1800015C
	v_accvgpr_read_b32 v13, a93                                // 000000005FFC: D3D8400D 1800015D
	v_accvgpr_read_b32 v14, a94                                // 000000006004: D3D8400E 1800015E
	v_accvgpr_read_b32 v15, a95                                // 00000000600C: D3D8400F 1800015F
	v_cvt_pk_bf16_f32 v16, v8, v9                              // 000000006014: D2680010 00021308
	v_cvt_pk_bf16_f32 v17, v10, v11                            // 00000000601C: D2680011 0002170A
	v_cvt_pk_bf16_f32 v18, v12, v13                            // 000000006024: D2680012 00021B0C
	v_cvt_pk_bf16_f32 v19, v14, v15                            // 00000000602C: D2680013 00021F0E
	s_nop 1                                                    // 000000006034: BF800001
	v_permlane16_swap_b32_e32 v16, v18                         // 000000006038: 7E20B312
	s_nop 1                                                    // 00000000603C: BF800001
	v_permlane16_swap_b32_e32 v17, v19                         // 000000006040: 7E22B313
	s_nop 1                                                    // 000000006044: BF800001
	buffer_store_dwordx4 v[16:19], v197, s[4:7], 0 offen       // 000000006048: E07C1000 800110C5
	v_add_u32_e32 v197, s62, v197                              // 000000006050: 698B8A3E
	s_branch label_0E9F                                        // 000000006054: BF820189

0000000000006058 <label_0D16>:
	s_mul_i32 s62, s36, 16                                     // 000000006058: 923E9024
	s_cmp_lt_i32 s60, s44                                      // 00000000605C: BF042C3C
	s_cbranch_scc0 label_0E9F                                  // 000000006060: BF840186
	s_addk_i32 s60, 0x20                                       // 000000006064: B73C0020
	v_add_u32_e32 v197, 0, v193                                // 000000006068: 698B8280
	v_accvgpr_read_b32 v8, a0                                  // 00000000606C: D3D84008 18000100
	v_accvgpr_read_b32 v9, a1                                  // 000000006074: D3D84009 18000101
	v_accvgpr_read_b32 v10, a2                                 // 00000000607C: D3D8400A 18000102
	v_accvgpr_read_b32 v11, a3                                 // 000000006084: D3D8400B 18000103
	v_accvgpr_read_b32 v12, a8                                 // 00000000608C: D3D8400C 18000108
	v_accvgpr_read_b32 v13, a9                                 // 000000006094: D3D8400D 18000109
	v_accvgpr_read_b32 v14, a10                                // 00000000609C: D3D8400E 1800010A
	v_accvgpr_read_b32 v15, a11                                // 0000000060A4: D3D8400F 1800010B
	v_cvt_pk_bf16_f32 v16, v8, v9                              // 0000000060AC: D2680010 00021308
	v_cvt_pk_bf16_f32 v17, v10, v11                            // 0000000060B4: D2680011 0002170A
	v_cvt_pk_bf16_f32 v18, v12, v13                            // 0000000060BC: D2680012 00021B0C
	v_cvt_pk_bf16_f32 v19, v14, v15                            // 0000000060C4: D2680013 00021F0E
	s_nop 1                                                    // 0000000060CC: BF800001
	v_permlane16_swap_b32_e32 v16, v18                         // 0000000060D0: 7E20B312
	s_nop 1                                                    // 0000000060D4: BF800001
	v_permlane16_swap_b32_e32 v17, v19                         // 0000000060D8: 7E22B313
	s_nop 1                                                    // 0000000060DC: BF800001
	buffer_store_dwordx4 v[16:19], v197, s[4:7], 0 offen       // 0000000060E0: E07C1000 800110C5
	v_add_u32_e32 v197, s62, v197                              // 0000000060E8: 698B8A3E
	v_accvgpr_read_b32 v8, a4                                  // 0000000060EC: D3D84008 18000104
	v_accvgpr_read_b32 v9, a5                                  // 0000000060F4: D3D84009 18000105
	v_accvgpr_read_b32 v10, a6                                 // 0000000060FC: D3D8400A 18000106
	v_accvgpr_read_b32 v11, a7                                 // 000000006104: D3D8400B 18000107
	v_accvgpr_read_b32 v12, a12                                // 00000000610C: D3D8400C 1800010C
	v_accvgpr_read_b32 v13, a13                                // 000000006114: D3D8400D 1800010D
	v_accvgpr_read_b32 v14, a14                                // 00000000611C: D3D8400E 1800010E
	v_accvgpr_read_b32 v15, a15                                // 000000006124: D3D8400F 1800010F
	v_cvt_pk_bf16_f32 v16, v8, v9                              // 00000000612C: D2680010 00021308
	v_cvt_pk_bf16_f32 v17, v10, v11                            // 000000006134: D2680011 0002170A
	v_cvt_pk_bf16_f32 v18, v12, v13                            // 00000000613C: D2680012 00021B0C
	v_cvt_pk_bf16_f32 v19, v14, v15                            // 000000006144: D2680013 00021F0E
	s_nop 1                                                    // 00000000614C: BF800001
	v_permlane16_swap_b32_e32 v16, v18                         // 000000006150: 7E20B312
	s_nop 1                                                    // 000000006154: BF800001
	v_permlane16_swap_b32_e32 v17, v19                         // 000000006158: 7E22B313
	s_nop 1                                                    // 00000000615C: BF800001
	buffer_store_dwordx4 v[16:19], v197, s[4:7], 0 offen       // 000000006160: E07C1000 800110C5
	v_add_u32_e32 v197, s62, v197                              // 000000006168: 698B8A3E
	v_accvgpr_read_b32 v8, a32                                 // 00000000616C: D3D84008 18000120
	v_accvgpr_read_b32 v9, a33                                 // 000000006174: D3D84009 18000121
	v_accvgpr_read_b32 v10, a34                                // 00000000617C: D3D8400A 18000122
	v_accvgpr_read_b32 v11, a35                                // 000000006184: D3D8400B 18000123
	v_accvgpr_read_b32 v12, a40                                // 00000000618C: D3D8400C 18000128
	v_accvgpr_read_b32 v13, a41                                // 000000006194: D3D8400D 18000129
	v_accvgpr_read_b32 v14, a42                                // 00000000619C: D3D8400E 1800012A
	v_accvgpr_read_b32 v15, a43                                // 0000000061A4: D3D8400F 1800012B
	v_cvt_pk_bf16_f32 v16, v8, v9                              // 0000000061AC: D2680010 00021308
	v_cvt_pk_bf16_f32 v17, v10, v11                            // 0000000061B4: D2680011 0002170A
	v_cvt_pk_bf16_f32 v18, v12, v13                            // 0000000061BC: D2680012 00021B0C
	v_cvt_pk_bf16_f32 v19, v14, v15                            // 0000000061C4: D2680013 00021F0E
	s_nop 1                                                    // 0000000061CC: BF800001
	v_permlane16_swap_b32_e32 v16, v18                         // 0000000061D0: 7E20B312
	s_nop 1                                                    // 0000000061D4: BF800001
	v_permlane16_swap_b32_e32 v17, v19                         // 0000000061D8: 7E22B313
	s_nop 1                                                    // 0000000061DC: BF800001
	buffer_store_dwordx4 v[16:19], v197, s[4:7], 0 offen       // 0000000061E0: E07C1000 800110C5
	v_add_u32_e32 v197, s62, v197                              // 0000000061E8: 698B8A3E
	v_accvgpr_read_b32 v8, a36                                 // 0000000061EC: D3D84008 18000124
	v_accvgpr_read_b32 v9, a37                                 // 0000000061F4: D3D84009 18000125
	v_accvgpr_read_b32 v10, a38                                // 0000000061FC: D3D8400A 18000126
	v_accvgpr_read_b32 v11, a39                                // 000000006204: D3D8400B 18000127
	v_accvgpr_read_b32 v12, a44                                // 00000000620C: D3D8400C 1800012C
	v_accvgpr_read_b32 v13, a45                                // 000000006214: D3D8400D 1800012D
	v_accvgpr_read_b32 v14, a46                                // 00000000621C: D3D8400E 1800012E
	v_accvgpr_read_b32 v15, a47                                // 000000006224: D3D8400F 1800012F
	v_cvt_pk_bf16_f32 v16, v8, v9                              // 00000000622C: D2680010 00021308
	v_cvt_pk_bf16_f32 v17, v10, v11                            // 000000006234: D2680011 0002170A
	v_cvt_pk_bf16_f32 v18, v12, v13                            // 00000000623C: D2680012 00021B0C
	v_cvt_pk_bf16_f32 v19, v14, v15                            // 000000006244: D2680013 00021F0E
	s_nop 1                                                    // 00000000624C: BF800001
	v_permlane16_swap_b32_e32 v16, v18                         // 000000006250: 7E20B312
	s_nop 1                                                    // 000000006254: BF800001
	v_permlane16_swap_b32_e32 v17, v19                         // 000000006258: 7E22B313
	s_nop 1                                                    // 00000000625C: BF800001
	buffer_store_dwordx4 v[16:19], v197, s[4:7], 0 offen       // 000000006260: E07C1000 800110C5
	v_add_u32_e32 v197, s62, v197                              // 000000006268: 698B8A3E
	v_accvgpr_read_b32 v8, a64                                 // 00000000626C: D3D84008 18000140
	v_accvgpr_read_b32 v9, a65                                 // 000000006274: D3D84009 18000141
	v_accvgpr_read_b32 v10, a66                                // 00000000627C: D3D8400A 18000142
	v_accvgpr_read_b32 v11, a67                                // 000000006284: D3D8400B 18000143
	v_accvgpr_read_b32 v12, a72                                // 00000000628C: D3D8400C 18000148
	v_accvgpr_read_b32 v13, a73                                // 000000006294: D3D8400D 18000149
	v_accvgpr_read_b32 v14, a74                                // 00000000629C: D3D8400E 1800014A
	v_accvgpr_read_b32 v15, a75                                // 0000000062A4: D3D8400F 1800014B
	v_cvt_pk_bf16_f32 v16, v8, v9                              // 0000000062AC: D2680010 00021308
	v_cvt_pk_bf16_f32 v17, v10, v11                            // 0000000062B4: D2680011 0002170A
	v_cvt_pk_bf16_f32 v18, v12, v13                            // 0000000062BC: D2680012 00021B0C
	v_cvt_pk_bf16_f32 v19, v14, v15                            // 0000000062C4: D2680013 00021F0E
	s_nop 1                                                    // 0000000062CC: BF800001
	v_permlane16_swap_b32_e32 v16, v18                         // 0000000062D0: 7E20B312
	s_nop 1                                                    // 0000000062D4: BF800001
	v_permlane16_swap_b32_e32 v17, v19                         // 0000000062D8: 7E22B313
	s_nop 1                                                    // 0000000062DC: BF800001
	buffer_store_dwordx4 v[16:19], v197, s[4:7], 0 offen       // 0000000062E0: E07C1000 800110C5
	v_add_u32_e32 v197, s62, v197                              // 0000000062E8: 698B8A3E
	v_accvgpr_read_b32 v8, a68                                 // 0000000062EC: D3D84008 18000144
	v_accvgpr_read_b32 v9, a69                                 // 0000000062F4: D3D84009 18000145
	v_accvgpr_read_b32 v10, a70                                // 0000000062FC: D3D8400A 18000146
	v_accvgpr_read_b32 v11, a71                                // 000000006304: D3D8400B 18000147
	v_accvgpr_read_b32 v12, a76                                // 00000000630C: D3D8400C 1800014C
	v_accvgpr_read_b32 v13, a77                                // 000000006314: D3D8400D 1800014D
	v_accvgpr_read_b32 v14, a78                                // 00000000631C: D3D8400E 1800014E
	v_accvgpr_read_b32 v15, a79                                // 000000006324: D3D8400F 1800014F
	v_cvt_pk_bf16_f32 v16, v8, v9                              // 00000000632C: D2680010 00021308
	v_cvt_pk_bf16_f32 v17, v10, v11                            // 000000006334: D2680011 0002170A
	v_cvt_pk_bf16_f32 v18, v12, v13                            // 00000000633C: D2680012 00021B0C
	v_cvt_pk_bf16_f32 v19, v14, v15                            // 000000006344: D2680013 00021F0E
	s_nop 1                                                    // 00000000634C: BF800001
	v_permlane16_swap_b32_e32 v16, v18                         // 000000006350: 7E20B312
	s_nop 1                                                    // 000000006354: BF800001
	v_permlane16_swap_b32_e32 v17, v19                         // 000000006358: 7E22B313
	s_nop 1                                                    // 00000000635C: BF800001
	buffer_store_dwordx4 v[16:19], v197, s[4:7], 0 offen       // 000000006360: E07C1000 800110C5
	v_add_u32_e32 v197, s62, v197                              // 000000006368: 698B8A3E
	s_cmp_lt_i32 s60, s44                                      // 00000000636C: BF042C3C
	s_cbranch_scc0 label_0E9F                                  // 000000006370: BF8400C2
	s_addk_i32 s60, 0x20                                       // 000000006374: B73C0020
	v_add_u32_e32 v197, 64, v193                               // 000000006378: 698B82C0
	v_accvgpr_read_b32 v8, a16                                 // 00000000637C: D3D84008 18000110
	v_accvgpr_read_b32 v9, a17                                 // 000000006384: D3D84009 18000111
	v_accvgpr_read_b32 v10, a18                                // 00000000638C: D3D8400A 18000112
	v_accvgpr_read_b32 v11, a19                                // 000000006394: D3D8400B 18000113
	v_accvgpr_read_b32 v12, a24                                // 00000000639C: D3D8400C 18000118
	v_accvgpr_read_b32 v13, a25                                // 0000000063A4: D3D8400D 18000119
	v_accvgpr_read_b32 v14, a26                                // 0000000063AC: D3D8400E 1800011A
	v_accvgpr_read_b32 v15, a27                                // 0000000063B4: D3D8400F 1800011B
	v_cvt_pk_bf16_f32 v16, v8, v9                              // 0000000063BC: D2680010 00021308
	v_cvt_pk_bf16_f32 v17, v10, v11                            // 0000000063C4: D2680011 0002170A
	v_cvt_pk_bf16_f32 v18, v12, v13                            // 0000000063CC: D2680012 00021B0C
	v_cvt_pk_bf16_f32 v19, v14, v15                            // 0000000063D4: D2680013 00021F0E
	s_nop 1                                                    // 0000000063DC: BF800001
	v_permlane16_swap_b32_e32 v16, v18                         // 0000000063E0: 7E20B312
	s_nop 1                                                    // 0000000063E4: BF800001
	v_permlane16_swap_b32_e32 v17, v19                         // 0000000063E8: 7E22B313
	s_nop 1                                                    // 0000000063EC: BF800001
	buffer_store_dwordx4 v[16:19], v197, s[4:7], 0 offen       // 0000000063F0: E07C1000 800110C5
	v_add_u32_e32 v197, s62, v197                              // 0000000063F8: 698B8A3E
	v_accvgpr_read_b32 v8, a20                                 // 0000000063FC: D3D84008 18000114
	v_accvgpr_read_b32 v9, a21                                 // 000000006404: D3D84009 18000115
	v_accvgpr_read_b32 v10, a22                                // 00000000640C: D3D8400A 18000116
	v_accvgpr_read_b32 v11, a23                                // 000000006414: D3D8400B 18000117
	v_accvgpr_read_b32 v12, a28                                // 00000000641C: D3D8400C 1800011C
	v_accvgpr_read_b32 v13, a29                                // 000000006424: D3D8400D 1800011D
	v_accvgpr_read_b32 v14, a30                                // 00000000642C: D3D8400E 1800011E
	v_accvgpr_read_b32 v15, a31                                // 000000006434: D3D8400F 1800011F
	v_cvt_pk_bf16_f32 v16, v8, v9                              // 00000000643C: D2680010 00021308
	v_cvt_pk_bf16_f32 v17, v10, v11                            // 000000006444: D2680011 0002170A
	v_cvt_pk_bf16_f32 v18, v12, v13                            // 00000000644C: D2680012 00021B0C
	v_cvt_pk_bf16_f32 v19, v14, v15                            // 000000006454: D2680013 00021F0E
	s_nop 1                                                    // 00000000645C: BF800001
	v_permlane16_swap_b32_e32 v16, v18                         // 000000006460: 7E20B312
	s_nop 1                                                    // 000000006464: BF800001
	v_permlane16_swap_b32_e32 v17, v19                         // 000000006468: 7E22B313
	s_nop 1                                                    // 00000000646C: BF800001
	buffer_store_dwordx4 v[16:19], v197, s[4:7], 0 offen       // 000000006470: E07C1000 800110C5
	v_add_u32_e32 v197, s62, v197                              // 000000006478: 698B8A3E
	v_accvgpr_read_b32 v8, a48                                 // 00000000647C: D3D84008 18000130
	v_accvgpr_read_b32 v9, a49                                 // 000000006484: D3D84009 18000131
	v_accvgpr_read_b32 v10, a50                                // 00000000648C: D3D8400A 18000132
	v_accvgpr_read_b32 v11, a51                                // 000000006494: D3D8400B 18000133
	v_accvgpr_read_b32 v12, a56                                // 00000000649C: D3D8400C 18000138
	v_accvgpr_read_b32 v13, a57                                // 0000000064A4: D3D8400D 18000139
	v_accvgpr_read_b32 v14, a58                                // 0000000064AC: D3D8400E 1800013A
	v_accvgpr_read_b32 v15, a59                                // 0000000064B4: D3D8400F 1800013B
	v_cvt_pk_bf16_f32 v16, v8, v9                              // 0000000064BC: D2680010 00021308
	v_cvt_pk_bf16_f32 v17, v10, v11                            // 0000000064C4: D2680011 0002170A
	v_cvt_pk_bf16_f32 v18, v12, v13                            // 0000000064CC: D2680012 00021B0C
	v_cvt_pk_bf16_f32 v19, v14, v15                            // 0000000064D4: D2680013 00021F0E
	s_nop 1                                                    // 0000000064DC: BF800001
	v_permlane16_swap_b32_e32 v16, v18                         // 0000000064E0: 7E20B312
	s_nop 1                                                    // 0000000064E4: BF800001
	v_permlane16_swap_b32_e32 v17, v19                         // 0000000064E8: 7E22B313
	s_nop 1                                                    // 0000000064EC: BF800001
	buffer_store_dwordx4 v[16:19], v197, s[4:7], 0 offen       // 0000000064F0: E07C1000 800110C5
	v_add_u32_e32 v197, s62, v197                              // 0000000064F8: 698B8A3E
	v_accvgpr_read_b32 v8, a52                                 // 0000000064FC: D3D84008 18000134
	v_accvgpr_read_b32 v9, a53                                 // 000000006504: D3D84009 18000135
	v_accvgpr_read_b32 v10, a54                                // 00000000650C: D3D8400A 18000136
	v_accvgpr_read_b32 v11, a55                                // 000000006514: D3D8400B 18000137
	v_accvgpr_read_b32 v12, a60                                // 00000000651C: D3D8400C 1800013C
	v_accvgpr_read_b32 v13, a61                                // 000000006524: D3D8400D 1800013D
	v_accvgpr_read_b32 v14, a62                                // 00000000652C: D3D8400E 1800013E
	v_accvgpr_read_b32 v15, a63                                // 000000006534: D3D8400F 1800013F
	v_cvt_pk_bf16_f32 v16, v8, v9                              // 00000000653C: D2680010 00021308
	v_cvt_pk_bf16_f32 v17, v10, v11                            // 000000006544: D2680011 0002170A
	v_cvt_pk_bf16_f32 v18, v12, v13                            // 00000000654C: D2680012 00021B0C
	v_cvt_pk_bf16_f32 v19, v14, v15                            // 000000006554: D2680013 00021F0E
	s_nop 1                                                    // 00000000655C: BF800001
	v_permlane16_swap_b32_e32 v16, v18                         // 000000006560: 7E20B312
	s_nop 1                                                    // 000000006564: BF800001
	v_permlane16_swap_b32_e32 v17, v19                         // 000000006568: 7E22B313
	s_nop 1                                                    // 00000000656C: BF800001
	buffer_store_dwordx4 v[16:19], v197, s[4:7], 0 offen       // 000000006570: E07C1000 800110C5
	v_add_u32_e32 v197, s62, v197                              // 000000006578: 698B8A3E
	v_accvgpr_read_b32 v8, a80                                 // 00000000657C: D3D84008 18000150
	v_accvgpr_read_b32 v9, a81                                 // 000000006584: D3D84009 18000151
	v_accvgpr_read_b32 v10, a82                                // 00000000658C: D3D8400A 18000152
	v_accvgpr_read_b32 v11, a83                                // 000000006594: D3D8400B 18000153
	v_accvgpr_read_b32 v12, a88                                // 00000000659C: D3D8400C 18000158
	v_accvgpr_read_b32 v13, a89                                // 0000000065A4: D3D8400D 18000159
	v_accvgpr_read_b32 v14, a90                                // 0000000065AC: D3D8400E 1800015A
	v_accvgpr_read_b32 v15, a91                                // 0000000065B4: D3D8400F 1800015B
	v_cvt_pk_bf16_f32 v16, v8, v9                              // 0000000065BC: D2680010 00021308
	v_cvt_pk_bf16_f32 v17, v10, v11                            // 0000000065C4: D2680011 0002170A
	v_cvt_pk_bf16_f32 v18, v12, v13                            // 0000000065CC: D2680012 00021B0C
	v_cvt_pk_bf16_f32 v19, v14, v15                            // 0000000065D4: D2680013 00021F0E
	s_nop 1                                                    // 0000000065DC: BF800001
	v_permlane16_swap_b32_e32 v16, v18                         // 0000000065E0: 7E20B312
	s_nop 1                                                    // 0000000065E4: BF800001
	v_permlane16_swap_b32_e32 v17, v19                         // 0000000065E8: 7E22B313
	s_nop 1                                                    // 0000000065EC: BF800001
	buffer_store_dwordx4 v[16:19], v197, s[4:7], 0 offen       // 0000000065F0: E07C1000 800110C5
	v_add_u32_e32 v197, s62, v197                              // 0000000065F8: 698B8A3E
	v_accvgpr_read_b32 v8, a84                                 // 0000000065FC: D3D84008 18000154
	v_accvgpr_read_b32 v9, a85                                 // 000000006604: D3D84009 18000155
	v_accvgpr_read_b32 v10, a86                                // 00000000660C: D3D8400A 18000156
	v_accvgpr_read_b32 v11, a87                                // 000000006614: D3D8400B 18000157
	v_accvgpr_read_b32 v12, a92                                // 00000000661C: D3D8400C 1800015C
	v_accvgpr_read_b32 v13, a93                                // 000000006624: D3D8400D 1800015D
	v_accvgpr_read_b32 v14, a94                                // 00000000662C: D3D8400E 1800015E
	v_accvgpr_read_b32 v15, a95                                // 000000006634: D3D8400F 1800015F
	v_cvt_pk_bf16_f32 v16, v8, v9                              // 00000000663C: D2680010 00021308
	v_cvt_pk_bf16_f32 v17, v10, v11                            // 000000006644: D2680011 0002170A
	v_cvt_pk_bf16_f32 v18, v12, v13                            // 00000000664C: D2680012 00021B0C
	v_cvt_pk_bf16_f32 v19, v14, v15                            // 000000006654: D2680013 00021F0E
	s_nop 1                                                    // 00000000665C: BF800001
	v_permlane16_swap_b32_e32 v16, v18                         // 000000006660: 7E20B312
	s_nop 1                                                    // 000000006664: BF800001
	v_permlane16_swap_b32_e32 v17, v19                         // 000000006668: 7E22B313
	s_nop 1                                                    // 00000000666C: BF800001
	buffer_store_dwordx4 v[16:19], v197, s[4:7], 0 offen       // 000000006670: E07C1000 800110C5
	v_add_u32_e32 v197, s62, v197                              // 000000006678: 698B8A3E

000000000000667c <label_0E9F>:
	s_waitcnt vmcnt(0) expcnt(0) lgkmcnt(0)                    // 00000000667C: BF8C0000
	s_endpgm                                                   // 000000006680: BF810000
